;; amdgpu-corpus repo=ROCm/rocFFT kind=compiled arch=gfx1201 opt=O3
	.text
	.amdgcn_target "amdgcn-amd-amdhsa--gfx1201"
	.amdhsa_code_object_version 6
	.protected	bluestein_single_back_len1540_dim1_sp_op_CI_CI ; -- Begin function bluestein_single_back_len1540_dim1_sp_op_CI_CI
	.globl	bluestein_single_back_len1540_dim1_sp_op_CI_CI
	.p2align	8
	.type	bluestein_single_back_len1540_dim1_sp_op_CI_CI,@function
bluestein_single_back_len1540_dim1_sp_op_CI_CI: ; @bluestein_single_back_len1540_dim1_sp_op_CI_CI
; %bb.0:
	s_load_b128 s[8:11], s[0:1], 0x28
	v_mul_u32_u24_e32 v1, 0x1aa, v0
	s_mov_b32 s2, exec_lo
	v_mov_b32_e32 v61, 0
	s_delay_alu instid0(VALU_DEP_2) | instskip(NEXT) | instid1(VALU_DEP_1)
	v_lshrrev_b32_e32 v1, 16, v1
	v_add_nc_u32_e32 v60, ttmp9, v1
	s_wait_kmcnt 0x0
	s_delay_alu instid0(VALU_DEP_1)
	v_cmpx_gt_u64_e64 s[8:9], v[60:61]
	s_cbranch_execz .LBB0_23
; %bb.1:
	s_clause 0x1
	s_load_b64 s[12:13], s[0:1], 0x0
	s_load_b64 s[8:9], s[0:1], 0x38
	v_mul_lo_u16 v1, 0x9a, v1
	s_delay_alu instid0(VALU_DEP_1) | instskip(NEXT) | instid1(VALU_DEP_1)
	v_sub_nc_u16 v0, v0, v1
	v_and_b32_e32 v83, 0xffff, v0
	v_cmp_gt_u16_e32 vcc_lo, 0x8c, v0
	s_delay_alu instid0(VALU_DEP_2)
	v_lshlrev_b32_e32 v84, 3, v83
	s_and_saveexec_b32 s3, vcc_lo
	s_cbranch_execz .LBB0_3
; %bb.2:
	s_load_b64 s[4:5], s[0:1], 0x18
	s_delay_alu instid0(VALU_DEP_1)
	v_add_nc_u32_e32 v46, 0x800, v84
	v_add_nc_u32_e32 v48, 0x1800, v84
	s_wait_kmcnt 0x0
	s_load_b128 s[4:7], s[4:5], 0x0
	s_wait_kmcnt 0x0
	v_mad_co_u64_u32 v[0:1], null, s6, v60, 0
	v_mad_co_u64_u32 v[2:3], null, s4, v83, 0
	s_delay_alu instid0(VALU_DEP_1) | instskip(NEXT) | instid1(VALU_DEP_1)
	v_mad_co_u64_u32 v[4:5], null, s7, v60, v[1:2]
	v_mad_co_u64_u32 v[5:6], null, s5, v83, v[3:4]
	v_mov_b32_e32 v1, v4
	s_mul_u64 s[4:5], s[4:5], 0x460
	s_delay_alu instid0(VALU_DEP_1) | instskip(NEXT) | instid1(VALU_DEP_3)
	v_lshlrev_b64_e32 v[0:1], 3, v[0:1]
	v_mov_b32_e32 v3, v5
	s_delay_alu instid0(VALU_DEP_2) | instskip(NEXT) | instid1(VALU_DEP_2)
	v_add_co_u32 v10, s2, s10, v0
	v_lshlrev_b64_e32 v[2:3], 3, v[2:3]
	s_delay_alu instid0(VALU_DEP_4)
	v_add_co_ci_u32_e64 v11, s2, s11, v1, s2
	s_clause 0x8
	global_load_b64 v[0:1], v84, s[12:13]
	global_load_b64 v[4:5], v84, s[12:13] offset:1120
	global_load_b64 v[6:7], v84, s[12:13] offset:2240
	;; [unrolled: 1-line block ×8, first 2 shown]
	v_add_co_u32 v2, s2, v10, v2
	s_wait_alu 0xf1ff
	v_add_co_ci_u32_e64 v3, s2, v11, v3, s2
	s_wait_alu 0xfffe
	s_delay_alu instid0(VALU_DEP_2) | instskip(SKIP_1) | instid1(VALU_DEP_2)
	v_add_co_u32 v10, s2, v2, s4
	s_wait_alu 0xf1ff
	v_add_co_ci_u32_e64 v11, s2, s5, v3, s2
	s_delay_alu instid0(VALU_DEP_2) | instskip(SKIP_1) | instid1(VALU_DEP_2)
	v_add_co_u32 v20, s2, v10, s4
	s_wait_alu 0xf1ff
	v_add_co_ci_u32_e64 v21, s2, s5, v11, s2
	s_clause 0x1
	global_load_b64 v[2:3], v[2:3], off
	global_load_b64 v[10:11], v[10:11], off
	v_add_co_u32 v24, s2, v20, s4
	s_wait_alu 0xf1ff
	v_add_co_ci_u32_e64 v25, s2, s5, v21, s2
	v_add_nc_u32_e32 v47, 0x1000, v84
	s_delay_alu instid0(VALU_DEP_3) | instskip(SKIP_1) | instid1(VALU_DEP_3)
	v_add_co_u32 v26, s2, v24, s4
	s_wait_alu 0xf1ff
	v_add_co_ci_u32_e64 v27, s2, s5, v25, s2
	s_clause 0x1
	global_load_b64 v[20:21], v[20:21], off
	global_load_b64 v[24:25], v[24:25], off
	v_add_co_u32 v28, s2, v26, s4
	s_wait_alu 0xf1ff
	v_add_co_ci_u32_e64 v29, s2, s5, v27, s2
	global_load_b64 v[26:27], v[26:27], off
	v_add_co_u32 v30, s2, v28, s4
	s_wait_alu 0xf1ff
	v_add_co_ci_u32_e64 v31, s2, s5, v29, s2
	;; [unrolled: 4-line block ×6, first 2 shown]
	global_load_b64 v[36:37], v[36:37], off
	s_clause 0x1
	global_load_b64 v[40:41], v84, s[12:13] offset:10080
	global_load_b64 v[42:43], v84, s[12:13] offset:11200
	global_load_b64 v[38:39], v[38:39], off
	s_wait_loadcnt 0xc
	v_dual_mul_f32 v44, v3, v1 :: v_dual_add_nc_u32 v49, 0x2000, v84
	v_mul_f32_e32 v45, v2, v1
	s_wait_loadcnt 0xb
	v_mul_f32_e32 v1, v11, v5
	v_mul_f32_e32 v5, v10, v5
	v_fmac_f32_e32 v44, v2, v0
	v_fma_f32 v45, v3, v0, -v45
	s_delay_alu instid0(VALU_DEP_3) | instskip(SKIP_4) | instid1(VALU_DEP_2)
	v_fma_f32 v2, v11, v4, -v5
	s_wait_loadcnt 0xa
	v_dual_mul_f32 v0, v21, v7 :: v_dual_fmac_f32 v1, v10, v4
	s_wait_loadcnt 0x9
	v_dual_mul_f32 v4, v20, v7 :: v_dual_mul_f32 v3, v25, v9
	v_fmac_f32_e32 v0, v20, v6
	ds_store_2addr_b64 v84, v[44:45], v[1:2] offset1:140
	v_mul_f32_e32 v2, v24, v9
	v_fma_f32 v1, v21, v6, -v4
	s_wait_loadcnt 0x8
	v_mul_f32_e32 v5, v27, v13
	s_wait_loadcnt 0x7
	v_dual_mul_f32 v6, v26, v13 :: v_dual_mul_f32 v7, v29, v15
	v_fma_f32 v4, v25, v8, -v2
	v_mul_f32_e32 v2, v28, v15
	v_fmac_f32_e32 v3, v24, v8
	v_fmac_f32_e32 v5, v26, v12
	v_fma_f32 v6, v27, v12, -v6
	s_wait_loadcnt 0x6
	v_mul_f32_e32 v9, v31, v17
	v_fma_f32 v8, v29, v14, -v2
	v_dual_mul_f32 v2, v30, v17 :: v_dual_fmac_f32 v7, v28, v14
	s_wait_loadcnt 0x5
	v_mul_f32_e32 v11, v33, v19
	v_mul_f32_e32 v12, v32, v19
	s_delay_alu instid0(VALU_DEP_3)
	v_fma_f32 v10, v31, v16, -v2
	s_wait_loadcnt 0x4
	v_mul_f32_e32 v2, v34, v23
	v_mul_f32_e32 v13, v35, v23
	v_fmac_f32_e32 v11, v32, v18
	v_fma_f32 v12, v33, v18, -v12
	s_wait_loadcnt 0x0
	v_dual_mul_f32 v15, v37, v41 :: v_dual_mul_f32 v18, v38, v43
	v_dual_fmac_f32 v9, v30, v16 :: v_dual_mul_f32 v16, v36, v41
	v_mul_f32_e32 v17, v39, v43
	v_fmac_f32_e32 v13, v34, v22
	v_fma_f32 v14, v35, v22, -v2
	v_fmac_f32_e32 v15, v36, v40
	v_fma_f32 v16, v37, v40, -v16
	;; [unrolled: 2-line block ×3, first 2 shown]
	ds_store_2addr_b64 v46, v[0:1], v[3:4] offset0:24 offset1:164
	ds_store_2addr_b64 v47, v[5:6], v[7:8] offset0:48 offset1:188
	;; [unrolled: 1-line block ×4, first 2 shown]
	ds_store_b64 v84, v[17:18] offset:11200
.LBB0_3:
	s_or_b32 exec_lo, exec_lo, s3
	s_clause 0x1
	s_load_b64 s[4:5], s[0:1], 0x20
	s_load_b64 s[2:3], s[0:1], 0x8
	v_mov_b32_e32 v4, 0
	v_mov_b32_e32 v5, 0
                                        ; kill: def $vgpr0 killed $sgpr0 killed $exec
	global_wb scope:SCOPE_SE
	s_wait_dscnt 0x0
	s_wait_kmcnt 0x0
	s_barrier_signal -1
	s_barrier_wait -1
	global_inv scope:SCOPE_SE
                                        ; implicit-def: $vgpr20
                                        ; implicit-def: $vgpr2
                                        ; implicit-def: $vgpr10
                                        ; implicit-def: $vgpr14
                                        ; implicit-def: $vgpr18
	s_and_saveexec_b32 s0, vcc_lo
	s_cbranch_execz .LBB0_5
; %bb.4:
	v_add_nc_u32_e32 v0, 0x800, v84
	v_add_nc_u32_e32 v1, 0x1000, v84
	;; [unrolled: 1-line block ×4, first 2 shown]
	ds_load_2addr_b64 v[4:7], v84 offset1:140
	ds_load_2addr_b64 v[16:19], v0 offset0:24 offset1:164
	ds_load_2addr_b64 v[12:15], v1 offset0:48 offset1:188
	;; [unrolled: 1-line block ×4, first 2 shown]
	ds_load_b64 v[20:21], v84 offset:11200
.LBB0_5:
	s_wait_alu 0xfffe
	s_or_b32 exec_lo, exec_lo, s0
	s_wait_dscnt 0x0
	v_dual_sub_f32 v50, v7, v21 :: v_dual_sub_f32 v41, v6, v20
	v_dual_add_f32 v35, v20, v6 :: v_dual_add_f32 v44, v21, v7
	v_dual_sub_f32 v53, v19, v1 :: v_dual_add_f32 v46, v1, v19
	s_delay_alu instid0(VALU_DEP_3) | instskip(SKIP_2) | instid1(VALU_DEP_3)
	v_dual_mul_f32 v22, 0xbf0a6770, v50 :: v_dual_mul_f32 v23, 0xbf0a6770, v41
	v_dual_sub_f32 v51, v17, v3 :: v_dual_sub_f32 v42, v12, v10
	v_add_f32_e32 v47, v11, v13
	v_dual_fmamk_f32 v26, v35, 0x3f575c64, v22 :: v_dual_sub_f32 v39, v16, v2
	s_delay_alu instid0(VALU_DEP_3) | instskip(SKIP_1) | instid1(VALU_DEP_3)
	v_dual_add_f32 v37, v2, v16 :: v_dual_mul_f32 v24, 0xbf68dda4, v51
	v_fma_f32 v27, 0x3f575c64, v44, -v23
	v_dual_add_f32 v45, v3, v17 :: v_dual_add_f32 v26, v26, v4
	s_delay_alu instid0(VALU_DEP_4) | instskip(NEXT) | instid1(VALU_DEP_3)
	v_dual_mul_f32 v25, 0xbf68dda4, v39 :: v_dual_sub_f32 v40, v18, v0
	v_dual_add_f32 v27, v27, v5 :: v_dual_add_f32 v38, v0, v18
	v_fmamk_f32 v30, v37, 0x3ed4b147, v24
	s_delay_alu instid0(VALU_DEP_3) | instskip(NEXT) | instid1(VALU_DEP_4)
	v_fma_f32 v31, 0x3ed4b147, v45, -v25
	v_dual_mul_f32 v28, 0xbf7d64f0, v53 :: v_dual_mul_f32 v29, 0xbf7d64f0, v40
	v_sub_f32_e32 v52, v13, v11
	s_delay_alu instid0(VALU_DEP_3) | instskip(NEXT) | instid1(VALU_DEP_3)
	v_dual_add_f32 v26, v30, v26 :: v_dual_add_f32 v27, v31, v27
	v_fmamk_f32 v31, v38, 0xbe11bafb, v28
	s_delay_alu instid0(VALU_DEP_4) | instskip(SKIP_2) | instid1(VALU_DEP_4)
	v_fma_f32 v32, 0xbe11bafb, v46, -v29
	v_add_f32_e32 v34, v10, v12
	v_mul_f32_e32 v30, 0xbf4178ce, v52
	v_dual_sub_f32 v43, v14, v8 :: v_dual_add_f32 v26, v31, v26
	v_mul_f32_e32 v31, 0xbf4178ce, v42
	s_delay_alu instid0(VALU_DEP_3) | instskip(SKIP_1) | instid1(VALU_DEP_4)
	v_dual_add_f32 v27, v32, v27 :: v_dual_fmamk_f32 v54, v34, 0xbf27a4f4, v30
	v_dual_add_f32 v49, v9, v15 :: v_dual_sub_f32 v48, v15, v9
	v_mul_f32_e32 v33, 0xbe903f40, v43
	s_delay_alu instid0(VALU_DEP_4)
	v_fma_f32 v55, 0xbf27a4f4, v47, -v31
	v_add_f32_e32 v36, v8, v14
	v_add_f32_e32 v26, v54, v26
	v_mul_lo_u16 v86, v83, 11
	global_wb scope:SCOPE_SE
	v_add_f32_e32 v27, v55, v27
	v_fma_f32 v55, 0xbf75a155, v49, -v33
	v_mul_f32_e32 v32, 0xbe903f40, v48
	s_barrier_signal -1
	s_barrier_wait -1
	global_inv scope:SCOPE_SE
	v_dual_add_f32 v27, v55, v27 :: v_dual_fmamk_f32 v54, v36, 0xbf75a155, v32
	s_delay_alu instid0(VALU_DEP_1)
	v_add_f32_e32 v26, v54, v26
	s_and_saveexec_b32 s0, vcc_lo
	s_cbranch_execz .LBB0_7
; %bb.6:
	v_mul_f32_e32 v61, 0x3ed4b147, v44
	v_mul_f32_e32 v66, 0xbf68dda4, v50
	;; [unrolled: 1-line block ×3, first 2 shown]
	v_dual_mul_f32 v64, 0xbe11bafb, v47 :: v_dual_mul_f32 v71, 0xbe11bafb, v45
	s_delay_alu instid0(VALU_DEP_3) | instskip(SKIP_1) | instid1(VALU_DEP_4)
	v_dual_mul_f32 v79, 0x3ed4b147, v49 :: v_dual_fmamk_f32 v56, v35, 0x3ed4b147, v66
	v_mul_f32_e32 v62, 0xbf27a4f4, v45
	v_fmamk_f32 v58, v37, 0xbf27a4f4, v67
	v_fmamk_f32 v54, v41, 0x3f68dda4, v61
	v_mul_f32_e32 v81, 0xbf75a155, v44
	v_mul_f32_e32 v94, 0x3ed4b147, v47
	v_fmamk_f32 v55, v39, 0x3f4178ce, v62
	v_mul_f32_e32 v80, 0xbe903f40, v52
	v_add_f32_e32 v54, v54, v5
	v_mul_f32_e32 v65, 0x3f575c64, v49
	v_mul_f32_e32 v85, 0x3f68dda4, v48
	v_fmamk_f32 v95, v42, 0xbf68dda4, v94
	v_fmac_f32_e32 v94, 0x3f68dda4, v42
	v_dual_add_f32 v54, v55, v54 :: v_dual_add_f32 v55, v56, v4
	v_mul_f32_e32 v77, 0xbf0a6770, v53
	v_fmamk_f32 v82, v41, 0x3e903f40, v81
	v_fmac_f32_e32 v81, 0xbe903f40, v41
	v_fmamk_f32 v56, v42, 0xbf7d64f0, v64
	v_dual_add_f32 v55, v58, v55 :: v_dual_fmamk_f32 v58, v43, 0xbf0a6770, v65
	v_mul_f32_e32 v68, 0x3e903f40, v53
	v_dual_mul_f32 v74, 0xbf4178ce, v50 :: v_dual_mul_f32 v93, 0xbf4178ce, v53
	v_dual_add_f32 v81, v81, v5 :: v_dual_mul_f32 v76, 0x3f0a6770, v48
	v_mul_f32_e32 v89, 0x3f0a6770, v51
	s_delay_alu instid0(VALU_DEP_4) | instskip(SKIP_4) | instid1(VALU_DEP_4)
	v_fmamk_f32 v59, v38, 0xbf75a155, v68
	v_mul_f32_e32 v63, 0xbf75a155, v46
	v_dual_fmamk_f32 v90, v36, 0x3ed4b147, v85 :: v_dual_mul_f32 v99, 0x3ed4b147, v46
	v_fmamk_f32 v78, v36, 0x3f575c64, v76
	v_fma_f32 v92, 0x3f575c64, v37, -v89
	v_fmamk_f32 v57, v40, 0xbe903f40, v63
	v_fmamk_f32 v72, v39, 0xbf7d64f0, v71
	v_dual_mul_f32 v100, 0x3f575c64, v47 :: v_dual_fmamk_f32 v89, v37, 0x3f575c64, v89
	v_fmac_f32_e32 v62, 0xbf4178ce, v39
	s_delay_alu instid0(VALU_DEP_4) | instskip(SKIP_2) | instid1(VALU_DEP_3)
	v_add_f32_e32 v54, v57, v54
	v_dual_add_f32 v6, v6, v4 :: v_dual_mul_f32 v53, 0x3f68dda4, v53
	v_fmac_f32_e32 v71, 0x3f7d64f0, v39
	v_dual_mul_f32 v97, 0xbf7d64f0, v48 :: v_dual_add_f32 v54, v56, v54
	v_add_f32_e32 v56, v59, v55
	v_dual_mul_f32 v48, 0xbf4178ce, v48 :: v_dual_add_f32 v7, v7, v5
	v_add_f32_e32 v16, v16, v6
	s_delay_alu instid0(VALU_DEP_4) | instskip(SKIP_3) | instid1(VALU_DEP_4)
	v_dual_add_f32 v55, v58, v54 :: v_dual_fmamk_f32 v58, v35, 0xbf27a4f4, v74
	v_mul_f32_e32 v73, 0x3f575c64, v46
	v_fma_f32 v74, 0xbf27a4f4, v35, -v74
	v_add_f32_e32 v7, v17, v7
	v_dual_fmac_f32 v61, 0xbf68dda4, v41 :: v_dual_add_f32 v58, v58, v4
	v_mul_f32_e32 v70, 0xbf27a4f4, v44
	v_fmac_f32_e32 v63, 0x3e903f40, v40
	v_fmac_f32_e32 v65, 0x3f0a6770, v43
	s_delay_alu instid0(VALU_DEP_4) | instskip(SKIP_2) | instid1(VALU_DEP_2)
	v_add_f32_e32 v61, v61, v5
	v_add_f32_e32 v7, v19, v7
	v_fmamk_f32 v57, v41, 0x3f4178ce, v70
	v_add_f32_e32 v7, v13, v7
	s_delay_alu instid0(VALU_DEP_2) | instskip(SKIP_1) | instid1(VALU_DEP_3)
	v_add_f32_e32 v57, v57, v5
	v_mul_f32_e32 v69, 0x3f7d64f0, v52
	v_add_f32_e32 v7, v15, v7
	s_delay_alu instid0(VALU_DEP_2) | instskip(NEXT) | instid1(VALU_DEP_2)
	v_fmamk_f32 v59, v34, 0xbe11bafb, v69
	v_dual_add_f32 v7, v9, v7 :: v_dual_fmac_f32 v64, 0x3f7d64f0, v42
	s_delay_alu instid0(VALU_DEP_2) | instskip(SKIP_2) | instid1(VALU_DEP_4)
	v_add_f32_e32 v54, v59, v56
	v_add_f32_e32 v56, v72, v57
	v_mul_f32_e32 v72, 0xbf75a155, v47
	v_add_f32_e32 v7, v11, v7
	s_delay_alu instid0(VALU_DEP_4) | instskip(SKIP_4) | instid1(VALU_DEP_3)
	v_dual_mul_f32 v47, 0xbf27a4f4, v47 :: v_dual_add_f32 v54, v78, v54
	v_fmamk_f32 v78, v34, 0xbf75a155, v80
	v_fmamk_f32 v57, v40, 0x3f0a6770, v73
	v_fmac_f32_e32 v73, 0xbf0a6770, v40
	v_add_f32_e32 v1, v1, v7
	v_dual_add_f32 v56, v57, v56 :: v_dual_fmamk_f32 v57, v42, 0x3e903f40, v72
	v_mul_f32_e32 v75, 0x3f7d64f0, v51
	s_delay_alu instid0(VALU_DEP_2) | instskip(NEXT) | instid1(VALU_DEP_2)
	v_dual_add_f32 v3, v3, v1 :: v_dual_add_f32 v56, v57, v56
	v_fmamk_f32 v59, v37, 0xbe11bafb, v75
	s_delay_alu instid0(VALU_DEP_2) | instskip(NEXT) | instid1(VALU_DEP_2)
	v_add_f32_e32 v3, v21, v3
	v_dual_add_f32 v57, v59, v58 :: v_dual_fmamk_f32 v58, v38, 0x3f575c64, v77
	v_fmamk_f32 v59, v43, 0xbf68dda4, v79
	s_delay_alu instid0(VALU_DEP_2) | instskip(NEXT) | instid1(VALU_DEP_2)
	v_dual_fmac_f32 v79, 0x3f68dda4, v43 :: v_dual_add_f32 v58, v58, v57
	v_dual_add_f32 v57, v59, v56 :: v_dual_mul_f32 v56, 0x3f575c64, v45
	v_mul_f32_e32 v59, 0xbf27a4f4, v46
	s_delay_alu instid0(VALU_DEP_3) | instskip(SKIP_1) | instid1(VALU_DEP_4)
	v_add_f32_e32 v58, v78, v58
	v_mul_f32_e32 v78, 0xbe903f40, v50
	v_fmamk_f32 v87, v39, 0xbf0a6770, v56
	v_fmac_f32_e32 v56, 0x3f0a6770, v39
	v_mul_f32_e32 v50, 0xbf7d64f0, v50
	v_mul_f32_e32 v96, 0xbe11bafb, v44
	v_fma_f32 v88, 0xbf75a155, v35, -v78
	s_delay_alu instid0(VALU_DEP_3) | instskip(NEXT) | instid1(VALU_DEP_2)
	v_dual_add_f32 v56, v56, v81 :: v_dual_fmamk_f32 v101, v35, 0xbe11bafb, v50
	v_dual_mul_f32 v51, 0x3e903f40, v51 :: v_dual_add_f32 v88, v88, v4
	s_delay_alu instid0(VALU_DEP_1) | instskip(SKIP_2) | instid1(VALU_DEP_2)
	v_add_f32_e32 v81, v92, v88
	v_fma_f32 v88, 0xbf27a4f4, v38, -v93
	v_mul_f32_e32 v92, 0x3f68dda4, v52
	v_dual_mul_f32 v52, 0xbf0a6770, v52 :: v_dual_add_f32 v81, v88, v81
	s_delay_alu instid0(VALU_DEP_2) | instskip(NEXT) | instid1(VALU_DEP_1)
	v_fma_f32 v88, 0x3ed4b147, v34, -v92
	v_dual_add_f32 v81, v88, v81 :: v_dual_fmamk_f32 v88, v41, 0x3f7d64f0, v96
	v_fmamk_f32 v78, v35, 0xbf75a155, v78
	v_fmac_f32_e32 v96, 0xbf7d64f0, v41
	s_delay_alu instid0(VALU_DEP_3) | instskip(SKIP_3) | instid1(VALU_DEP_2)
	v_add_f32_e32 v88, v88, v5
	v_fmamk_f32 v91, v40, 0x3f4178ce, v59
	v_fmac_f32_e32 v59, 0xbf4178ce, v40
	v_add_f32_e32 v78, v78, v4
	v_dual_add_f32 v59, v59, v56 :: v_dual_add_f32 v56, v90, v58
	v_mul_f32_e32 v58, 0xbe11bafb, v49
	v_mul_f32_e32 v90, 0xbf75a155, v45
	s_delay_alu instid0(VALU_DEP_3)
	v_dual_add_f32 v78, v89, v78 :: v_dual_add_f32 v59, v94, v59
	v_add_f32_e32 v82, v82, v5
	v_fmamk_f32 v89, v34, 0x3f575c64, v52
	v_fmamk_f32 v94, v43, 0x3f7d64f0, v58
	v_fmac_f32_e32 v58, 0xbf7d64f0, v43
	v_fmamk_f32 v98, v39, 0xbe903f40, v90
	v_dual_add_f32 v82, v87, v82 :: v_dual_mul_f32 v45, 0x3ed4b147, v45
	s_delay_alu instid0(VALU_DEP_3) | instskip(NEXT) | instid1(VALU_DEP_3)
	v_add_f32_e32 v59, v58, v59
	v_add_f32_e32 v88, v98, v88
	s_delay_alu instid0(VALU_DEP_3) | instskip(SKIP_3) | instid1(VALU_DEP_4)
	v_add_f32_e32 v82, v91, v82
	v_fma_f32 v58, 0xbe11bafb, v36, -v97
	v_fmamk_f32 v98, v40, 0xbf68dda4, v99
	v_fmac_f32_e32 v99, 0x3f68dda4, v40
	v_dual_add_f32 v13, v25, v45 :: v_dual_add_f32 v82, v95, v82
	v_fmac_f32_e32 v70, 0xbf4178ce, v41
	v_add_f32_e32 v58, v58, v81
	v_add_f32_e32 v81, v98, v88
	v_fmamk_f32 v88, v42, 0x3f0a6770, v100
	v_add_f32_e32 v98, v101, v4
	v_dual_fmamk_f32 v101, v37, 0xbf75a155, v51 :: v_dual_add_f32 v70, v70, v5
	v_fma_f32 v51, 0xbf75a155, v37, -v51
	s_delay_alu instid0(VALU_DEP_2) | instskip(SKIP_1) | instid1(VALU_DEP_4)
	v_dual_add_f32 v81, v88, v81 :: v_dual_add_f32 v88, v101, v98
	v_fmamk_f32 v98, v38, 0x3ed4b147, v53
	v_add_f32_e32 v70, v71, v70
	s_delay_alu instid0(VALU_DEP_1) | instskip(NEXT) | instid1(VALU_DEP_3)
	v_dual_add_f32 v70, v73, v70 :: v_dual_mul_f32 v73, 0x3f575c64, v35
	v_dual_add_f32 v87, v98, v88 :: v_dual_fmac_f32 v90, 0x3e903f40, v39
	s_delay_alu instid0(VALU_DEP_2) | instskip(NEXT) | instid1(VALU_DEP_2)
	v_dual_fmamk_f32 v88, v38, 0xbf27a4f4, v93 :: v_dual_sub_f32 v19, v73, v22
	v_add_f32_e32 v71, v89, v87
	v_mul_f32_e32 v87, 0x3f575c64, v44
	v_add_f32_e32 v44, v74, v4
	v_fma_f32 v74, 0xbe11bafb, v37, -v75
	v_add_f32_e32 v78, v88, v78
	s_delay_alu instid0(VALU_DEP_4) | instskip(NEXT) | instid1(VALU_DEP_3)
	v_dual_fmamk_f32 v88, v34, 0x3ed4b147, v92 :: v_dual_add_f32 v23, v23, v87
	v_dual_mul_f32 v75, 0xbe11bafb, v38 :: v_dual_add_f32 v44, v74, v44
	v_fma_f32 v74, 0x3f575c64, v38, -v77
	v_add_f32_e32 v77, v96, v5
	s_delay_alu instid0(VALU_DEP_4) | instskip(NEXT) | instid1(VALU_DEP_4)
	v_dual_add_f32 v78, v88, v78 :: v_dual_add_f32 v5, v23, v5
	v_sub_f32_e32 v9, v75, v28
	s_delay_alu instid0(VALU_DEP_4)
	v_add_f32_e32 v44, v74, v44
	v_mul_f32_e32 v74, 0xbf27a4f4, v49
	v_add_f32_e32 v77, v90, v77
	v_fma_f32 v50, 0xbe11bafb, v35, -v50
	v_fma_f32 v35, 0x3ed4b147, v35, -v66
	v_fmac_f32_e32 v72, 0xbe903f40, v42
	s_delay_alu instid0(VALU_DEP_4) | instskip(SKIP_1) | instid1(VALU_DEP_3)
	v_dual_mul_f32 v90, 0xbf75a155, v36 :: v_dual_add_f32 v77, v99, v77
	v_add_f32_e32 v5, v13, v5
	v_dual_add_f32 v35, v35, v4 :: v_dual_add_f32 v70, v72, v70
	v_mul_f32_e32 v72, 0x3ed4b147, v37
	v_fma_f32 v37, 0xbf27a4f4, v37, -v67
	v_add_f32_e32 v50, v50, v4
	v_dual_add_f32 v4, v19, v4 :: v_dual_mul_f32 v49, 0xbf75a155, v49
	s_delay_alu instid0(VALU_DEP_3) | instskip(SKIP_1) | instid1(VALU_DEP_3)
	v_add_f32_e32 v35, v37, v35
	v_fma_f32 v37, 0xbf75a155, v38, -v68
	v_add_f32_e32 v7, v33, v49
	s_delay_alu instid0(VALU_DEP_2) | instskip(SKIP_4) | instid1(VALU_DEP_4)
	v_dual_add_f32 v35, v37, v35 :: v_dual_mul_f32 v88, 0xbe11bafb, v46
	v_fma_f32 v46, 0xbf75a155, v34, -v80
	v_fmac_f32_e32 v100, 0xbf0a6770, v42
	v_mul_f32_e32 v80, 0xbf27a4f4, v34
	v_fma_f32 v42, 0xbf27a4f4, v36, -v48
	v_dual_add_f32 v89, v46, v44 :: v_dual_fmamk_f32 v44, v43, 0x3f4178ce, v74
	v_add_f32_e32 v46, v79, v70
	v_fma_f32 v70, 0x3ed4b147, v36, -v85
	v_dual_add_f32 v77, v100, v77 :: v_dual_fmac_f32 v74, 0xbf4178ce, v43
	s_delay_alu instid0(VALU_DEP_4) | instskip(SKIP_1) | instid1(VALU_DEP_4)
	v_add_f32_e32 v44, v44, v81
	v_dual_fmamk_f32 v81, v36, 0xbf27a4f4, v48 :: v_dual_add_f32 v16, v18, v16
	v_add_f32_e32 v45, v70, v89
	s_delay_alu instid0(VALU_DEP_4) | instskip(SKIP_1) | instid1(VALU_DEP_4)
	v_add_f32_e32 v39, v74, v77
	v_add_f32_e32 v41, v94, v82
	v_dual_add_f32 v43, v81, v71 :: v_dual_add_f32 v12, v12, v16
	v_fmamk_f32 v82, v36, 0xbe11bafb, v97
	v_sub_f32_e32 v16, v72, v24
	v_fma_f32 v18, 0x3f575c64, v36, -v76
	s_delay_alu instid0(VALU_DEP_4) | instskip(NEXT) | instid1(VALU_DEP_3)
	v_add_f32_e32 v12, v14, v12
	v_add_f32_e32 v4, v16, v4
	s_delay_alu instid0(VALU_DEP_2)
	v_add_f32_e32 v8, v8, v12
	v_add_f32_e32 v12, v31, v47
	;; [unrolled: 1-line block ×3, first 2 shown]
	v_fma_f32 v51, 0x3ed4b147, v38, -v53
	v_add_f32_e32 v4, v9, v4
	v_dual_add_f32 v8, v10, v8 :: v_dual_sub_f32 v9, v80, v30
	s_delay_alu instid0(VALU_DEP_3) | instskip(SKIP_2) | instid1(VALU_DEP_3)
	v_dual_add_f32 v53, v62, v61 :: v_dual_add_f32 v40, v51, v50
	v_fma_f32 v50, 0x3f575c64, v34, -v52
	v_fma_f32 v34, 0xbe11bafb, v34, -v69
	v_dual_add_f32 v0, v0, v8 :: v_dual_add_f32 v51, v63, v53
	v_add_f32_e32 v4, v9, v4
	s_delay_alu instid0(VALU_DEP_4) | instskip(NEXT) | instid1(VALU_DEP_4)
	v_add_f32_e32 v40, v50, v40
	v_add_f32_e32 v17, v34, v35
	s_delay_alu instid0(VALU_DEP_4) | instskip(SKIP_2) | instid1(VALU_DEP_3)
	v_dual_add_f32 v13, v29, v88 :: v_dual_add_f32 v48, v64, v51
	v_sub_f32_e32 v8, v90, v32
	v_dual_add_f32 v2, v2, v0 :: v_dual_and_b32 v9, 0xffff, v86
	v_add_f32_e32 v5, v13, v5
	s_delay_alu instid0(VALU_DEP_4) | instskip(NEXT) | instid1(VALU_DEP_4)
	v_add_f32_e32 v6, v65, v48
	v_add_f32_e32 v0, v8, v4
	s_delay_alu instid0(VALU_DEP_4) | instskip(SKIP_2) | instid1(VALU_DEP_1)
	v_add_f32_e32 v2, v20, v2
	v_lshlrev_b32_e32 v4, 3, v9
	v_dual_add_f32 v5, v12, v5 :: v_dual_add_f32 v38, v42, v40
	v_dual_add_f32 v40, v82, v78 :: v_dual_add_f32 v1, v7, v5
	v_add_f32_e32 v5, v18, v17
	ds_store_2addr_b64 v4, v[2:3], v[0:1] offset1:1
	ds_store_2addr_b64 v4, v[5:6], v[38:39] offset0:2 offset1:3
	ds_store_2addr_b64 v4, v[45:46], v[58:59] offset0:4 offset1:5
	;; [unrolled: 1-line block ×4, first 2 shown]
	ds_store_b64 v4, v[26:27] offset:80
.LBB0_7:
	s_wait_alu 0xfffe
	s_or_b32 exec_lo, exec_lo, s0
	v_and_b32_e32 v0, 0xff, v83
	v_add_co_u32 v1, null, 0x268, v83
	v_add_co_u32 v4, null, 0x134, v83
	s_delay_alu instid0(VALU_DEP_3) | instskip(NEXT) | instid1(VALU_DEP_3)
	v_mul_lo_u16 v0, 0x75, v0
	v_and_b32_e32 v2, 0xffff, v1
	v_add_co_u32 v6, null, 0x1ce, v83
	s_delay_alu instid0(VALU_DEP_4) | instskip(NEXT) | instid1(VALU_DEP_4)
	v_and_b32_e32 v8, 0xffff, v4
	v_lshrrev_b16 v3, 8, v0
	s_delay_alu instid0(VALU_DEP_4)
	v_mul_u32_u24_e32 v0, 0xba2f, v2
	s_load_b128 s[4:7], s[4:5], 0x0
	global_wb scope:SCOPE_SE
	s_wait_dscnt 0x0
	s_wait_kmcnt 0x0
	s_barrier_signal -1
	v_sub_nc_u16 v2, v83, v3
	v_lshrrev_b32_e32 v23, 19, v0
	v_add_nc_u16 v0, v83, 0x9a
	s_barrier_wait -1
	global_inv scope:SCOPE_SE
	v_lshrrev_b16 v2, 1, v2
	v_mul_lo_u16 v5, v23, 11
	v_and_b32_e32 v7, 0xffff, v0
	v_cmp_gt_u16_e64 s0, 0x42, v83
                                        ; implicit-def: $vgpr46
                                        ; implicit-def: $vgpr50
	s_delay_alu instid0(VALU_DEP_4) | instskip(NEXT) | instid1(VALU_DEP_4)
	v_and_b32_e32 v2, 0x7f, v2
	v_sub_nc_u16 v24, v1, v5
	s_delay_alu instid0(VALU_DEP_4) | instskip(SKIP_1) | instid1(VALU_DEP_4)
	v_mul_u32_u24_e32 v1, 0xba2f, v7
	v_mul_u32_u24_e32 v5, 0xba2f, v8
	v_add_nc_u16 v2, v2, v3
	v_and_b32_e32 v3, 0xffff, v6
	v_and_b32_e32 v7, 0xffff, v24
	v_lshrrev_b32_e32 v19, 19, v1
	v_lshrrev_b32_e32 v20, 19, v5
	v_lshrrev_b16 v25, 3, v2
	v_mul_u32_u24_e32 v2, 0xba2f, v3
	v_lshlrev_b32_e32 v3, 3, v7
	v_mad_u16 v23, v23, 22, v24
	v_mul_lo_u16 v7, v20, 11
	v_mul_lo_u16 v5, v25, 11
	v_lshrrev_b32_e32 v21, 19, v2
	v_mul_lo_u16 v2, v19, 11
	global_load_b64 v[61:62], v3, s[2:3]
	v_sub_nc_u16 v28, v4, v7
	v_sub_nc_u16 v3, v83, v5
	v_mul_lo_u16 v5, v21, 11
	v_sub_nc_u16 v22, v0, v2
	v_and_b32_e32 v25, 0xffff, v25
	s_delay_alu instid0(VALU_DEP_4) | instskip(NEXT) | instid1(VALU_DEP_4)
	v_and_b32_e32 v29, 0xff, v3
	v_sub_nc_u16 v30, v6, v5
	s_delay_alu instid0(VALU_DEP_4)
	v_and_b32_e32 v2, 0xffff, v22
	v_and_b32_e32 v3, 0xffff, v28
	v_mad_u16 v32, v19, 22, v22
	v_lshlrev_b32_e32 v4, 3, v29
	v_and_b32_e32 v5, 0xffff, v30
	v_lshlrev_b32_e32 v2, 3, v2
	v_lshlrev_b32_e32 v3, 3, v3
	v_and_b32_e32 v24, 0xffff, v32
	global_load_b64 v[67:68], v4, s[2:3]
	v_lshlrev_b32_e32 v4, 3, v5
	v_mad_u16 v28, v20, 22, v28
	s_clause 0x2
	global_load_b64 v[69:70], v2, s[2:3]
	global_load_b64 v[65:66], v3, s[2:3]
	;; [unrolled: 1-line block ×3, first 2 shown]
	v_and_b32_e32 v2, 0xffff, v83
	v_mul_u32_u24_e32 v25, 22, v25
	v_and_b32_e32 v28, 0xffff, v28
	v_lshlrev_b32_e32 v92, 3, v24
	v_mad_u16 v30, v21, 22, v30
	v_lshlrev_b32_e32 v85, 3, v2
	s_delay_alu instid0(VALU_DEP_4) | instskip(NEXT) | instid1(VALU_DEP_3)
	v_lshlrev_b32_e32 v91, 3, v28
	v_and_b32_e32 v30, 0xffff, v30
	s_delay_alu instid0(VALU_DEP_3)
	v_add_nc_u32_e32 v2, 0x2400, v85
	ds_load_2addr_b64 v[3:6], v2 offset0:80 offset1:234
	ds_load_2addr_b64 v[7:10], v85 offset1:154
	v_lshlrev_b32_e32 v90, 3, v30
	s_wait_loadcnt_dscnt 0x401
	v_mul_f32_e32 v28, v5, v62
	v_mul_f32_e32 v24, v6, v62
	s_delay_alu instid0(VALU_DEP_2) | instskip(NEXT) | instid1(VALU_DEP_2)
	v_fmac_f32_e32 v28, v6, v61
	v_fma_f32 v5, v5, v61, -v24
	s_wait_loadcnt 0x0
	v_dual_mul_f32 v32, v3, v64 :: v_dual_add_nc_u32 v15, 0x1c00, v85
	s_delay_alu instid0(VALU_DEP_1)
	v_fmac_f32_e32 v32, v4, v63
	v_add_nc_u32_e32 v2, 0x1200, v85
	ds_load_2addr_b64 v[11:14], v2 offset0:40 offset1:194
	ds_load_2addr_b64 v[15:18], v15 offset0:28 offset1:182
	s_wait_dscnt 0x1
	v_mul_f32_e32 v6, v13, v68
	v_add_lshl_u32 v93, v25, v29, 3
	s_wait_dscnt 0x0
	v_dual_mul_f32 v29, v17, v66 :: v_dual_sub_f32 v24, v11, v5
	v_mul_f32_e32 v5, v14, v68
	v_dual_fmac_f32 v6, v14, v67 :: v_dual_sub_f32 v25, v12, v28
	s_delay_alu instid0(VALU_DEP_3)
	v_fmac_f32_e32 v29, v18, v65
	v_and_b32_e32 v23, 0xffff, v23
	v_fma_f32 v30, v11, 2.0, -v24
	v_mul_f32_e32 v11, v16, v70
	v_mul_f32_e32 v28, v18, v66
	v_fma_f32 v5, v13, v67, -v5
	v_lshlrev_b32_e32 v89, 3, v23
	v_mul_f32_e32 v23, v15, v70
	v_fma_f32 v11, v15, v69, -v11
	v_fma_f32 v13, v17, v65, -v28
	v_add_nc_u32_e32 v36, 0xd00, v85
	s_delay_alu instid0(VALU_DEP_4)
	v_fmac_f32_e32 v23, v16, v69
	v_add_nc_u32_e32 v31, 0x800, v85
	ds_load_2addr_b64 v[19:22], v31 offset0:52 offset1:206
	v_mul_f32_e32 v31, v4, v64
	v_sub_f32_e32 v4, v8, v6
	v_sub_f32_e32 v6, v10, v23
	global_wb scope:SCOPE_SE
	s_wait_dscnt 0x0
	s_barrier_signal -1
	v_fma_f32 v15, v3, v63, -v31
	v_sub_f32_e32 v3, v7, v5
	v_sub_f32_e32 v5, v9, v11
	v_add_nc_u32_e32 v37, 0x1b00, v85
	v_fma_f32 v8, v8, 2.0, -v4
	v_fma_f32 v10, v10, 2.0, -v6
	;; [unrolled: 1-line block ×5, first 2 shown]
	s_barrier_wait -1
	global_inv scope:SCOPE_SE
	v_dual_sub_f32 v28, v21, v15 :: v_dual_sub_f32 v13, v19, v13
	v_dual_sub_f32 v14, v20, v29 :: v_dual_sub_f32 v29, v22, v32
	s_delay_alu instid0(VALU_DEP_2) | instskip(NEXT) | instid1(VALU_DEP_3)
	v_fma_f32 v17, v21, 2.0, -v28
	v_fma_f32 v15, v19, 2.0, -v13
	s_delay_alu instid0(VALU_DEP_3) | instskip(NEXT) | instid1(VALU_DEP_4)
	v_fma_f32 v16, v20, 2.0, -v14
	v_fma_f32 v18, v22, 2.0, -v29
	ds_store_2addr_b64 v93, v[7:8], v[3:4] offset1:11
	ds_store_2addr_b64 v92, v[9:10], v[5:6] offset1:11
	;; [unrolled: 1-line block ×5, first 2 shown]
	global_wb scope:SCOPE_SE
	s_wait_dscnt 0x0
	s_barrier_signal -1
	s_barrier_wait -1
	global_inv scope:SCOPE_SE
	ds_load_2addr_b64 v[32:35], v85 offset1:220
	ds_load_2addr_b64 v[40:43], v36 offset0:24 offset1:244
	ds_load_2addr_b64 v[36:39], v37 offset0:16 offset1:236
	ds_load_b64 v[48:49], v85 offset:10560
	s_and_saveexec_b32 s1, s0
	s_cbranch_execz .LBB0_9
; %bb.8:
	v_add_nc_u32_e32 v3, 0x400, v85
	v_add_nc_u32_e32 v4, 0x2000, v85
	ds_load_2addr_b64 v[24:27], v2 offset0:18 offset1:238
	ds_load_2addr_b64 v[28:31], v3 offset0:26 offset1:246
	;; [unrolled: 1-line block ×3, first 2 shown]
	ds_load_b64 v[50:51], v85 offset:11792
.LBB0_9:
	s_wait_alu 0xfffe
	s_or_b32 exec_lo, exec_lo, s1
	v_lshrrev_b32_e32 v87, 20, v1
	v_lshrrev_b16 v2, 1, v83
	s_delay_alu instid0(VALU_DEP_2) | instskip(NEXT) | instid1(VALU_DEP_1)
	v_mul_lo_u16 v1, v87, 22
	v_sub_nc_u16 v88, v0, v1
	s_delay_alu instid0(VALU_DEP_3) | instskip(NEXT) | instid1(VALU_DEP_2)
	v_and_b32_e32 v0, 0x7f, v2
	v_mul_lo_u16 v1, v88, 48
	s_delay_alu instid0(VALU_DEP_2) | instskip(NEXT) | instid1(VALU_DEP_2)
	v_mul_lo_u16 v0, 0xbb, v0
	v_and_b32_e32 v1, 0xffff, v1
	s_delay_alu instid0(VALU_DEP_2) | instskip(NEXT) | instid1(VALU_DEP_2)
	v_lshrrev_b16 v52, 11, v0
	v_add_co_u32 v8, s1, s2, v1
	s_wait_alu 0xf1ff
	v_add_co_ci_u32_e64 v9, null, s3, 0, s1
	s_delay_alu instid0(VALU_DEP_3)
	v_mul_lo_u16 v4, v52, 22
	global_load_b128 v[0:3], v[8:9], off offset:104
	v_sub_nc_u16 v10, v83, v4
	global_load_b128 v[4:7], v[8:9], off offset:120
	v_and_b32_e32 v52, 0xffff, v52
	v_and_b32_e32 v53, 0xff, v10
	s_wait_loadcnt_dscnt 0x101
	v_mul_f32_e32 v55, v44, v3
	s_delay_alu instid0(VALU_DEP_3)
	v_mul_u32_u24_e32 v52, 0x9a, v52
	v_mul_f32_e32 v54, v45, v3
	s_wait_loadcnt_dscnt 0x0
	v_dual_mul_f32 v56, v47, v5 :: v_dual_mul_f32 v59, v50, v7
	v_dual_mul_f32 v57, v46, v5 :: v_dual_mul_f32 v58, v51, v7
	v_add_lshl_u32 v94, v52, v53, 3
	v_mul_f32_e32 v52, v27, v1
	v_mad_co_u64_u32 v[10:11], null, v53, 48, s[2:3]
	v_mul_f32_e32 v53, v26, v1
	s_clause 0x3
	global_load_b128 v[20:23], v[10:11], off offset:88
	global_load_b128 v[16:19], v[10:11], off offset:104
	;; [unrolled: 1-line block ×4, first 2 shown]
	v_fma_f32 v26, v26, v0, -v52
	v_fmac_f32_e32 v53, v27, v0
	v_fma_f32 v27, v44, v2, -v54
	v_fmac_f32_e32 v55, v45, v2
	v_fma_f32 v44, v46, v4, -v56
	v_fmac_f32_e32 v57, v47, v4
	v_fma_f32 v45, v50, v6, -v58
	v_dual_fmac_f32 v59, v51, v6 :: v_dual_add_f32 v46, v26, v27
	global_wb scope:SCOPE_SE
	s_wait_loadcnt 0x0
	s_barrier_signal -1
	s_barrier_wait -1
	global_inv scope:SCOPE_SE
	v_sub_f32_e32 v26, v27, v26
	v_mul_f32_e32 v50, v35, v21
	v_mul_f32_e32 v56, v37, v19
	v_add_f32_e32 v47, v53, v55
	v_dual_sub_f32 v27, v55, v53 :: v_dual_mul_f32 v58, v36, v19
	v_dual_mul_f32 v51, v34, v21 :: v_dual_mul_f32 v74, v48, v15
	v_mul_f32_e32 v52, v41, v23
	v_dual_mul_f32 v53, v40, v23 :: v_dual_mul_f32 v54, v43, v17
	s_delay_alu instid0(VALU_DEP_4)
	v_dual_mul_f32 v71, v39, v13 :: v_dual_fmac_f32 v58, v37, v18
	v_dual_mul_f32 v72, v38, v13 :: v_dual_mul_f32 v73, v49, v15
	v_dual_mul_f32 v55, v42, v17 :: v_dual_mul_f32 v78, v24, v11
	v_dual_mul_f32 v75, v31, v9 :: v_dual_fmac_f32 v74, v49, v14
	v_dual_mul_f32 v76, v30, v9 :: v_dual_mul_f32 v77, v25, v11
	v_fma_f32 v34, v34, v20, -v50
	s_delay_alu instid0(VALU_DEP_4)
	v_dual_fmac_f32 v51, v35, v20 :: v_dual_fmac_f32 v78, v25, v10
	v_fma_f32 v35, v40, v22, -v52
	v_dual_fmac_f32 v53, v41, v22 :: v_dual_fmac_f32 v72, v39, v12
	v_fma_f32 v37, v38, v12, -v71
	v_fma_f32 v38, v48, v14, -v73
	;; [unrolled: 1-line block ×3, first 2 shown]
	v_fmac_f32_e32 v55, v43, v16
	v_fma_f32 v36, v36, v18, -v56
	v_fma_f32 v30, v30, v8, -v75
	v_dual_fmac_f32 v76, v31, v8 :: v_dual_add_f32 v25, v34, v38
	v_fma_f32 v24, v24, v10, -v77
	s_delay_alu instid0(VALU_DEP_4)
	v_dual_add_f32 v31, v51, v74 :: v_dual_add_f32 v42, v40, v36
	v_sub_f32_e32 v34, v34, v38
	v_dual_sub_f32 v38, v51, v74 :: v_dual_add_f32 v41, v53, v72
	v_dual_add_f32 v39, v35, v37 :: v_dual_sub_f32 v36, v36, v40
	v_dual_sub_f32 v35, v35, v37 :: v_dual_sub_f32 v40, v58, v55
	v_dual_sub_f32 v37, v53, v72 :: v_dual_add_f32 v48, v30, v45
	v_dual_add_f32 v43, v55, v58 :: v_dual_sub_f32 v30, v30, v45
	v_add_f32_e32 v49, v76, v59
	v_dual_sub_f32 v45, v76, v59 :: v_dual_add_f32 v52, v39, v25
	v_dual_add_f32 v50, v24, v44 :: v_dual_add_f32 v51, v78, v57
	v_dual_sub_f32 v24, v24, v44 :: v_dual_add_f32 v53, v41, v31
	v_sub_f32_e32 v44, v78, v57
	v_dual_sub_f32 v54, v39, v25 :: v_dual_sub_f32 v55, v41, v31
	v_dual_sub_f32 v25, v25, v42 :: v_dual_sub_f32 v56, v43, v41
	v_sub_f32_e32 v31, v31, v43
	v_dual_sub_f32 v39, v42, v39 :: v_dual_add_f32 v72, v51, v49
	v_add_f32_e32 v41, v36, v35
	v_add_f32_e32 v57, v40, v37
	v_dual_sub_f32 v58, v36, v35 :: v_dual_sub_f32 v71, v38, v40
	v_dual_sub_f32 v59, v40, v37 :: v_dual_add_f32 v76, v27, v44
	v_dual_sub_f32 v35, v35, v34 :: v_dual_sub_f32 v80, v45, v27
	v_dual_sub_f32 v37, v37, v38 :: v_dual_sub_f32 v74, v51, v49
	v_add_f32_e32 v40, v50, v48
	v_dual_sub_f32 v73, v50, v48 :: v_dual_sub_f32 v48, v48, v46
	v_dual_sub_f32 v49, v49, v47 :: v_dual_sub_f32 v78, v27, v44
	v_sub_f32_e32 v50, v46, v50
	v_add_f32_e32 v75, v26, v24
	v_dual_sub_f32 v77, v26, v24 :: v_dual_add_f32 v38, v57, v38
	v_dual_sub_f32 v81, v24, v30 :: v_dual_add_f32 v42, v42, v52
	v_dual_add_f32 v43, v43, v53 :: v_dual_sub_f32 v36, v34, v36
	v_dual_sub_f32 v51, v47, v51 :: v_dual_sub_f32 v44, v44, v45
	v_dual_sub_f32 v79, v30, v26 :: v_dual_mul_f32 v24, 0x3f4a47b2, v25
	v_dual_add_f32 v34, v41, v34 :: v_dual_mul_f32 v25, 0x3f4a47b2, v31
	v_add_f32_e32 v46, v46, v40
	v_dual_mul_f32 v26, 0x3d64c772, v39 :: v_dual_mul_f32 v27, 0x3d64c772, v56
	v_add_f32_e32 v30, v75, v30
	v_dual_mul_f32 v31, 0xbf08b237, v58 :: v_dual_mul_f32 v52, 0xbf08b237, v59
	v_mul_f32_e32 v53, 0x3f5ff5aa, v35
	v_dual_mul_f32 v57, 0x3f5ff5aa, v37 :: v_dual_add_f32 v40, v32, v42
	v_dual_add_f32 v47, v47, v72 :: v_dual_mul_f32 v58, 0x3d64c772, v50
	v_dual_mul_f32 v72, 0xbf08b237, v77 :: v_dual_mul_f32 v75, 0xbf08b237, v78
	v_dual_add_f32 v41, v33, v43 :: v_dual_fmamk_f32 v78, v36, 0x3eae86e6, v31
	v_dual_add_f32 v45, v76, v45 :: v_dual_mul_f32 v48, 0x3f4a47b2, v48
	v_mul_f32_e32 v49, 0x3f4a47b2, v49
	v_dual_mul_f32 v59, 0x3d64c772, v51 :: v_dual_fmamk_f32 v32, v39, 0x3d64c772, v24
	v_mul_f32_e32 v76, 0x3f5ff5aa, v81
	v_fma_f32 v39, 0x3f3bfb3b, v54, -v26
	v_fma_f32 v54, 0xbf3bfb3b, v54, -v24
	v_fmamk_f32 v82, v71, 0x3eae86e6, v52
	v_fma_f32 v35, 0x3f5ff5aa, v35, -v31
	v_fma_f32 v36, 0xbeae86e6, v36, -v53
	v_add_f32_e32 v24, v28, v46
	v_fmamk_f32 v26, v79, 0x3eae86e6, v72
	v_dual_fmamk_f32 v42, v42, 0xbf955555, v40 :: v_dual_fmamk_f32 v43, v43, 0xbf955555, v41
	v_mul_f32_e32 v77, 0x3f5ff5aa, v44
	v_fmamk_f32 v33, v56, 0x3d64c772, v25
	v_fma_f32 v56, 0x3f3bfb3b, v55, -v27
	s_delay_alu instid0(VALU_DEP_4)
	v_add_f32_e32 v54, v54, v42
	v_fma_f32 v55, 0xbf3bfb3b, v55, -v25
	v_add_f32_e32 v25, v29, v47
	v_fmamk_f32 v27, v80, 0x3eae86e6, v75
	v_fma_f32 v37, 0x3f5ff5aa, v37, -v52
	v_fma_f32 v52, 0xbeae86e6, v71, -v57
	v_dual_fmamk_f32 v31, v50, 0x3d64c772, v48 :: v_dual_fmamk_f32 v50, v51, 0x3d64c772, v49
	v_fma_f32 v51, 0x3f3bfb3b, v73, -v58
	v_fma_f32 v53, 0x3f3bfb3b, v74, -v59
	;; [unrolled: 1-line block ×7, first 2 shown]
	v_dual_fmac_f32 v78, 0x3ee1c552, v34 :: v_dual_fmac_f32 v27, 0x3ee1c552, v45
	v_dual_fmac_f32 v82, 0x3ee1c552, v38 :: v_dual_add_f32 v33, v33, v43
	s_delay_alu instid0(VALU_DEP_4)
	v_dual_fmac_f32 v35, 0x3ee1c552, v34 :: v_dual_fmac_f32 v58, 0x3ee1c552, v45
	v_dual_fmac_f32 v36, 0x3ee1c552, v34 :: v_dual_add_f32 v55, v55, v43
	v_dual_fmamk_f32 v34, v46, 0xbf955555, v24 :: v_dual_add_f32 v59, v39, v42
	v_fmamk_f32 v44, v47, 0xbf955555, v25
	v_add_f32_e32 v32, v32, v42
	v_fma_f32 v28, 0xbeae86e6, v80, -v77
	v_fmac_f32_e32 v37, 0x3ee1c552, v38
	v_dual_fmac_f32 v57, 0x3ee1c552, v30 :: v_dual_add_f32 v56, v56, v43
	s_delay_alu instid0(VALU_DEP_4) | instskip(NEXT) | instid1(VALU_DEP_4)
	v_dual_add_f32 v71, v51, v34 :: v_dual_add_f32 v42, v82, v32
	v_dual_fmac_f32 v28, 0x3ee1c552, v45 :: v_dual_sub_f32 v43, v33, v78
	v_fmac_f32_e32 v52, 0x3ee1c552, v38
	v_dual_fmac_f32 v26, 0x3ee1c552, v30 :: v_dual_add_f32 v39, v49, v44
	v_dual_fmac_f32 v29, 0x3ee1c552, v30 :: v_dual_add_f32 v72, v53, v44
	v_dual_add_f32 v30, v31, v34 :: v_dual_sub_f32 v49, v56, v35
	v_dual_add_f32 v31, v50, v44 :: v_dual_add_f32 v38, v48, v34
	v_dual_sub_f32 v45, v55, v36 :: v_dual_add_f32 v44, v52, v54
	v_add_f32_e32 v47, v35, v56
	v_dual_sub_f32 v46, v59, v37 :: v_dual_add_f32 v51, v36, v55
	v_dual_add_f32 v48, v37, v59 :: v_dual_add_f32 v53, v78, v33
	v_dual_sub_f32 v50, v54, v52 :: v_dual_sub_f32 v33, v72, v57
	v_dual_sub_f32 v52, v32, v82 :: v_dual_add_f32 v37, v57, v72
	v_dual_sub_f32 v36, v71, v58 :: v_dual_add_f32 v35, v29, v39
	v_add_f32_e32 v32, v58, v71
	v_sub_f32_e32 v34, v38, v28
	v_sub_f32_e32 v81, v30, v27
	v_add_f32_e32 v82, v26, v31
	ds_store_2addr_b64 v94, v[40:41], v[42:43] offset1:22
	ds_store_2addr_b64 v94, v[44:45], v[46:47] offset0:44 offset1:66
	ds_store_2addr_b64 v94, v[48:49], v[50:51] offset0:88 offset1:110
	ds_store_b64 v94, v[52:53] offset:1056
	s_and_saveexec_b32 s1, s0
	s_cbranch_execz .LBB0_11
; %bb.10:
	v_mad_u16 v40, 0x9a, v87, v88
	v_add_f32_e32 v30, v27, v30
	v_dual_add_f32 v28, v28, v38 :: v_dual_sub_f32 v29, v39, v29
	s_delay_alu instid0(VALU_DEP_3) | instskip(NEXT) | instid1(VALU_DEP_1)
	v_dual_sub_f32 v31, v31, v26 :: v_dual_and_b32 v40, 0xffff, v40
	v_lshlrev_b32_e32 v26, 3, v40
	ds_store_2addr_b64 v26, v[24:25], v[30:31] offset1:22
	ds_store_2addr_b64 v26, v[28:29], v[36:37] offset0:44 offset1:66
	ds_store_2addr_b64 v26, v[32:33], v[34:35] offset0:88 offset1:110
	ds_store_b64 v26, v[81:82] offset:1056
.LBB0_11:
	s_wait_alu 0xfffe
	s_or_b32 exec_lo, exec_lo, s1
	v_lshlrev_b32_e32 v71, 5, v83
	global_wb scope:SCOPE_SE
	s_wait_dscnt 0x0
	s_barrier_signal -1
	s_barrier_wait -1
	global_inv scope:SCOPE_SE
	s_clause 0x1
	global_load_b128 v[28:31], v71, s[2:3] offset:1144
	global_load_b128 v[24:27], v71, s[2:3] offset:1160
	v_add_nc_u32_e32 v38, 0x800, v85
	v_add_nc_u32_e32 v39, 0x1200, v85
	;; [unrolled: 1-line block ×4, first 2 shown]
	v_mul_i32_i24_e32 v73, 0xffffffe8, v83
	ds_load_2addr_b64 v[40:43], v38 offset0:52 offset1:206
	ds_load_2addr_b64 v[44:47], v39 offset0:40 offset1:194
	ds_load_2addr_b64 v[48:51], v85 offset1:154
	ds_load_2addr_b64 v[52:55], v104 offset0:28 offset1:182
	ds_load_2addr_b64 v[56:59], v95 offset0:80 offset1:234
	v_add_co_u32 v71, s1, s2, v71
	v_mul_hi_i32_i24_e32 v72, 0xffffffe8, v83
	s_wait_alu 0xf1ff
	v_add_co_ci_u32_e64 v74, null, s3, 0, s1
	s_delay_alu instid0(VALU_DEP_3)
	v_add_co_u32 v77, s1, v71, v73
	global_wb scope:SCOPE_SE
	s_wait_loadcnt_dscnt 0x0
	s_wait_alu 0xf1ff
	v_add_co_ci_u32_e64 v78, s1, v74, v72, s1
	s_barrier_signal -1
	s_barrier_wait -1
	global_inv scope:SCOPE_SE
	v_dual_mul_f32 v71, v41, v29 :: v_dual_mul_f32 v98, v47, v31
	v_dual_mul_f32 v72, v40, v29 :: v_dual_mul_f32 v73, v45, v31
	;; [unrolled: 1-line block ×3, first 2 shown]
	v_mul_f32_e32 v79, v57, v27
	v_mul_f32_e32 v80, v56, v27
	v_dual_mul_f32 v96, v43, v29 :: v_dual_mul_f32 v103, v58, v27
	v_mul_f32_e32 v74, v44, v31
	v_dual_mul_f32 v76, v52, v25 :: v_dual_mul_f32 v99, v46, v31
	v_dual_mul_f32 v97, v42, v29 :: v_dual_fmac_f32 v72, v41, v28
	v_fma_f32 v40, v40, v28, -v71
	v_mul_f32_e32 v100, v55, v25
	v_dual_mul_f32 v101, v54, v25 :: v_dual_fmac_f32 v74, v45, v30
	v_fma_f32 v41, v44, v30, -v73
	v_fma_f32 v52, v52, v24, -v75
	v_fma_f32 v56, v56, v26, -v79
	v_dual_fmac_f32 v80, v57, v26 :: v_dual_fmac_f32 v97, v43, v28
	v_fma_f32 v42, v42, v28, -v96
	v_dual_fmac_f32 v76, v53, v24 :: v_dual_fmac_f32 v99, v47, v30
	v_fma_f32 v44, v46, v30, -v98
	v_fma_f32 v58, v58, v26, -v102
	v_add_f32_e32 v43, v48, v40
	v_fma_f32 v53, v54, v24, -v100
	v_dual_fmac_f32 v101, v55, v24 :: v_dual_sub_f32 v46, v40, v41
	v_dual_fmac_f32 v103, v59, v26 :: v_dual_add_f32 v54, v40, v56
	v_dual_sub_f32 v57, v72, v80 :: v_dual_add_f32 v106, v50, v42
	v_dual_sub_f32 v47, v56, v52 :: v_dual_add_f32 v112, v42, v58
	v_dual_add_f32 v45, v41, v52 :: v_dual_sub_f32 v98, v72, v74
	v_dual_add_f32 v73, v49, v72 :: v_dual_sub_f32 v118, v44, v53
	;; [unrolled: 1-line block ×3, first 2 shown]
	v_dual_sub_f32 v96, v41, v52 :: v_dual_add_f32 v107, v44, v53
	v_dual_add_f32 v102, v72, v80 :: v_dual_sub_f32 v111, v58, v53
	v_dual_sub_f32 v55, v41, v40 :: v_dual_add_f32 v116, v99, v101
	v_dual_sub_f32 v71, v52, v56 :: v_dual_sub_f32 v114, v53, v58
	v_dual_sub_f32 v100, v80, v76 :: v_dual_sub_f32 v109, v99, v101
	v_dual_sub_f32 v72, v74, v72 :: v_dual_sub_f32 v113, v44, v42
	v_dual_sub_f32 v105, v76, v80 :: v_dual_add_f32 v124, v46, v47
	v_dual_sub_f32 v110, v42, v44 :: v_dual_add_f32 v115, v51, v97
	s_delay_alu instid0(VALU_DEP_2)
	v_dual_sub_f32 v117, v42, v58 :: v_dual_add_f32 v72, v72, v105
	v_sub_f32_e32 v119, v97, v99
	v_fma_f32 v42, -0.5, v54, v48
	v_dual_add_f32 v54, v106, v44 :: v_dual_add_f32 v121, v97, v103
	v_dual_sub_f32 v59, v74, v76 :: v_dual_sub_f32 v108, v97, v103
	v_dual_sub_f32 v79, v40, v56 :: v_dual_sub_f32 v122, v101, v103
	v_fma_f32 v40, -0.5, v45, v48
	v_add_f32_e32 v123, v43, v41
	s_delay_alu instid0(VALU_DEP_4)
	v_dual_add_f32 v47, v73, v74 :: v_dual_fmamk_f32 v48, v59, 0xbf737871, v42
	v_fma_f32 v41, -0.5, v75, v49
	v_fma_f32 v43, -0.5, v102, v49
	v_fma_f32 v44, -0.5, v107, v50
	v_fma_f32 v50, -0.5, v112, v50
	v_add_f32_e32 v71, v55, v71
	v_dual_add_f32 v73, v98, v100 :: v_dual_fmac_f32 v42, 0x3f737871, v59
	v_dual_add_f32 v55, v115, v99 :: v_dual_add_f32 v100, v54, v53
	v_fma_f32 v45, -0.5, v116, v51
	v_dual_add_f32 v98, v119, v120 :: v_dual_fmac_f32 v51, -0.5, v121
	v_dual_sub_f32 v97, v99, v97 :: v_dual_add_f32 v74, v110, v111
	v_dual_add_f32 v75, v113, v114 :: v_dual_add_f32 v76, v47, v76
	v_fmamk_f32 v46, v57, 0x3f737871, v40
	v_dual_fmamk_f32 v47, v79, 0xbf737871, v41 :: v_dual_add_f32 v58, v100, v58
	v_dual_add_f32 v99, v123, v52 :: v_dual_fmamk_f32 v54, v109, 0xbf737871, v50
	v_fmamk_f32 v49, v96, 0x3f737871, v43
	v_dual_fmac_f32 v43, 0xbf737871, v96 :: v_dual_fmac_f32 v40, 0xbf737871, v57
	v_dual_fmac_f32 v41, 0x3f737871, v79 :: v_dual_fmac_f32 v50, 0x3f737871, v109
	v_dual_fmamk_f32 v52, v108, 0x3f737871, v44 :: v_dual_add_f32 v101, v55, v101
	v_fmac_f32_e32 v46, 0x3f167918, v59
	v_fmamk_f32 v53, v117, 0xbf737871, v45
	v_fmamk_f32 v55, v118, 0x3f737871, v51
	v_dual_add_f32 v97, v97, v122 :: v_dual_fmac_f32 v44, 0xbf737871, v108
	v_fmac_f32_e32 v45, 0x3f737871, v117
	v_fmac_f32_e32 v51, 0xbf737871, v118
	v_dual_fmac_f32 v42, 0xbf167918, v57 :: v_dual_fmac_f32 v47, 0xbf167918, v96
	v_add_f32_e32 v56, v99, v56
	v_dual_fmac_f32 v48, 0x3f167918, v57 :: v_dual_fmac_f32 v41, 0x3f167918, v96
	v_dual_fmac_f32 v49, 0xbf167918, v79 :: v_dual_fmac_f32 v44, 0xbf167918, v109
	;; [unrolled: 1-line block ×3, first 2 shown]
	v_dual_fmac_f32 v40, 0xbf167918, v59 :: v_dual_add_f32 v57, v76, v80
	v_dual_fmac_f32 v54, 0x3f167918, v108 :: v_dual_add_f32 v59, v101, v103
	v_dual_fmac_f32 v50, 0xbf167918, v108 :: v_dual_fmac_f32 v53, 0xbf167918, v118
	v_fmac_f32_e32 v55, 0xbf167918, v117
	v_fmac_f32_e32 v45, 0x3f167918, v118
	v_fmac_f32_e32 v51, 0x3f167918, v117
	v_dual_fmac_f32 v46, 0x3e9e377a, v124 :: v_dual_fmac_f32 v47, 0x3e9e377a, v73
	v_dual_fmac_f32 v48, 0x3e9e377a, v71 :: v_dual_fmac_f32 v49, 0x3e9e377a, v72
	;; [unrolled: 1-line block ×8, first 2 shown]
	ds_store_2addr_b64 v85, v[56:57], v[46:47] offset1:154
	ds_store_2addr_b64 v38, v[48:49], v[42:43] offset0:52 offset1:206
	ds_store_2addr_b64 v39, v[40:41], v[58:59] offset0:40 offset1:194
	;; [unrolled: 1-line block ×4, first 2 shown]
	global_wb scope:SCOPE_SE
	s_wait_dscnt 0x0
	s_barrier_signal -1
	s_barrier_wait -1
	global_inv scope:SCOPE_SE
	s_clause 0x4
	global_load_b64 v[75:76], v[77:78], off offset:6072
	global_load_b64 v[79:80], v[77:78], off offset:7304
	;; [unrolled: 1-line block ×5, first 2 shown]
	ds_load_2addr_b64 v[40:43], v39 offset0:40 offset1:194
	ds_load_2addr_b64 v[44:47], v104 offset0:28 offset1:182
	;; [unrolled: 1-line block ×3, first 2 shown]
	ds_load_2addr_b64 v[96:99], v85 offset1:154
	ds_load_2addr_b64 v[100:103], v38 offset0:52 offset1:206
	s_wait_loadcnt_dscnt 0x404
	v_mul_f32_e32 v53, v42, v76
	s_wait_loadcnt_dscnt 0x303
	v_mul_f32_e32 v54, v45, v80
	s_wait_loadcnt 0x2
	v_mul_f32_e32 v56, v47, v72
	v_mul_f32_e32 v52, v43, v76
	;; [unrolled: 1-line block ×3, first 2 shown]
	s_wait_loadcnt_dscnt 0x102
	v_dual_mul_f32 v57, v46, v72 :: v_dual_mul_f32 v58, v49, v74
	v_mul_f32_e32 v105, v48, v74
	s_wait_loadcnt 0x0
	v_dual_mul_f32 v106, v50, v78 :: v_dual_fmac_f32 v53, v43, v75
	v_fma_f32 v43, v44, v79, -v54
	v_fma_f32 v44, v46, v71, -v56
	v_mul_f32_e32 v59, v51, v78
	v_fma_f32 v42, v42, v75, -v52
	v_fmac_f32_e32 v55, v45, v79
	s_wait_dscnt 0x0
	v_dual_fmac_f32 v57, v47, v71 :: v_dual_sub_f32 v54, v100, v44
	v_fma_f32 v45, v48, v73, -v58
	v_fmac_f32_e32 v105, v49, v73
	v_fma_f32 v48, v50, v77, -v59
	v_fmac_f32_e32 v106, v51, v77
	v_sub_f32_e32 v46, v96, v42
	v_sub_f32_e32 v58, v98, v43
	;; [unrolled: 1-line block ×5, first 2 shown]
	v_dual_sub_f32 v51, v103, v105 :: v_dual_sub_f32 v42, v40, v48
	v_sub_f32_e32 v47, v97, v53
	v_sub_f32_e32 v43, v41, v106
	v_fma_f32 v44, v96, 2.0, -v46
	v_fma_f32 v56, v98, 2.0, -v58
	;; [unrolled: 1-line block ×10, first 2 shown]
	ds_store_2addr_b64 v104, v[58:59], v[54:55] offset0:28 offset1:182
	ds_store_2addr_b64 v95, v[50:51], v[42:43] offset0:80 offset1:234
	ds_store_2addr_b64 v85, v[44:45], v[56:57] offset1:154
	ds_store_2addr_b64 v38, v[52:53], v[48:49] offset0:52 offset1:206
	ds_store_2addr_b64 v39, v[40:41], v[46:47] offset0:40 offset1:194
	global_wb scope:SCOPE_SE
	s_wait_dscnt 0x0
	s_barrier_signal -1
	s_barrier_wait -1
	global_inv scope:SCOPE_SE
	s_and_saveexec_b32 s1, vcc_lo
	s_cbranch_execz .LBB0_13
; %bb.12:
	global_load_b64 v[38:39], v84, s[12:13] offset:12320
	s_add_nc_u64 s[2:3], s[12:13], 0x3020
	s_clause 0x9
	global_load_b64 v[115:116], v84, s[2:3] offset:1120
	global_load_b64 v[117:118], v84, s[2:3] offset:2240
	global_load_b64 v[119:120], v84, s[2:3] offset:3360
	global_load_b64 v[121:122], v84, s[2:3] offset:4480
	global_load_b64 v[123:124], v84, s[2:3] offset:5600
	global_load_b64 v[125:126], v84, s[2:3] offset:6720
	global_load_b64 v[127:128], v84, s[2:3] offset:7840
	global_load_b64 v[129:130], v84, s[2:3] offset:8960
	global_load_b64 v[131:132], v84, s[2:3] offset:10080
	global_load_b64 v[133:134], v84, s[2:3] offset:11200
	ds_load_b64 v[95:96], v85
	v_add_nc_u32_e32 v135, 0x400, v84
	v_add_nc_u32_e32 v136, 0xc00, v84
	v_add_nc_u32_e32 v137, 0x1400, v84
	s_wait_loadcnt_dscnt 0xa00
	v_mul_f32_e32 v97, v96, v39
	v_mul_f32_e32 v98, v95, v39
	s_delay_alu instid0(VALU_DEP_2) | instskip(NEXT) | instid1(VALU_DEP_2)
	v_fma_f32 v97, v95, v38, -v97
	v_fmac_f32_e32 v98, v96, v38
	ds_store_b64 v85, v[97:98]
	ds_load_2addr_b64 v[95:98], v135 offset0:12 offset1:152
	v_add_nc_u32_e32 v139, 0x2400, v84
	ds_load_2addr_b64 v[99:102], v136 offset0:36 offset1:176
	ds_load_2addr_b64 v[103:106], v137 offset0:60 offset1:200
	s_wait_loadcnt_dscnt 0x802
	v_mul_f32_e32 v140, v98, v118
	v_mul_f32_e32 v38, v96, v116
	v_dual_mul_f32 v39, v95, v116 :: v_dual_mul_f32 v116, v97, v118
	v_add_nc_u32_e32 v138, 0x1c00, v84
	s_wait_loadcnt_dscnt 0x601
	v_dual_mul_f32 v141, v100, v120 :: v_dual_mul_f32 v142, v102, v122
	s_delay_alu instid0(VALU_DEP_3)
	v_fmac_f32_e32 v39, v96, v115
	ds_load_2addr_b64 v[107:110], v138 offset0:84 offset1:224
	ds_load_2addr_b64 v[111:114], v139 offset0:108 offset1:248
	v_mul_f32_e32 v118, v99, v120
	s_wait_loadcnt_dscnt 0x502
	v_dual_mul_f32 v120, v101, v122 :: v_dual_mul_f32 v143, v104, v124
	v_mul_f32_e32 v122, v103, v124
	s_wait_loadcnt 0x4
	v_mul_f32_e32 v144, v106, v126
	v_mul_f32_e32 v124, v105, v126
	v_fma_f32 v38, v95, v115, -v38
	v_fma_f32 v115, v97, v117, -v140
	v_fmac_f32_e32 v116, v98, v117
	v_fma_f32 v117, v99, v119, -v141
	v_fmac_f32_e32 v118, v100, v119
	;; [unrolled: 2-line block ×4, first 2 shown]
	s_wait_loadcnt_dscnt 0x301
	v_mul_f32_e32 v145, v108, v128
	s_wait_loadcnt_dscnt 0x100
	v_mul_f32_e32 v147, v112, v132
	v_mul_f32_e32 v126, v107, v128
	;; [unrolled: 1-line block ×5, first 2 shown]
	s_wait_loadcnt 0x0
	v_mul_f32_e32 v148, v114, v134
	v_mul_f32_e32 v132, v113, v134
	v_fma_f32 v123, v105, v125, -v144
	v_fmac_f32_e32 v124, v106, v125
	v_fma_f32 v125, v107, v127, -v145
	v_fmac_f32_e32 v126, v108, v127
	;; [unrolled: 2-line block ×5, first 2 shown]
	ds_store_2addr_b64 v135, v[38:39], v[115:116] offset0:12 offset1:152
	ds_store_2addr_b64 v136, v[117:118], v[119:120] offset0:36 offset1:176
	;; [unrolled: 1-line block ×5, first 2 shown]
.LBB0_13:
	s_wait_alu 0xfffe
	s_or_b32 exec_lo, exec_lo, s1
	global_wb scope:SCOPE_SE
	s_wait_dscnt 0x0
	s_barrier_signal -1
	s_barrier_wait -1
	global_inv scope:SCOPE_SE
	s_and_saveexec_b32 s1, vcc_lo
	s_cbranch_execz .LBB0_15
; %bb.14:
	v_add_nc_u32_e32 v36, 0x800, v85
	v_add_nc_u32_e32 v37, 0x1000, v85
	;; [unrolled: 1-line block ×4, first 2 shown]
	ds_load_2addr_b64 v[44:47], v85 offset1:140
	ds_load_2addr_b64 v[56:59], v36 offset0:24 offset1:164
	ds_load_2addr_b64 v[52:55], v37 offset0:48 offset1:188
	ds_load_2addr_b64 v[48:51], v38 offset0:72 offset1:212
	ds_load_2addr_b64 v[40:43], v39 offset0:96 offset1:236
	ds_load_b64 v[36:37], v85 offset:11200
.LBB0_15:
	s_wait_alu 0xfffe
	s_or_b32 exec_lo, exec_lo, s1
	s_wait_dscnt 0x0
	v_dual_sub_f32 v115, v47, v37 :: v_dual_sub_f32 v120, v46, v36
	v_dual_add_f32 v109, v37, v47 :: v_dual_add_f32 v108, v42, v56
	v_add_f32_e32 v107, v36, v46
	s_delay_alu instid0(VALU_DEP_3) | instskip(SKIP_1) | instid1(VALU_DEP_4)
	v_mul_f32_e32 v95, 0xbf0a6770, v115
	v_dual_sub_f32 v116, v57, v43 :: v_dual_add_f32 v111, v43, v57
	v_dual_mul_f32 v96, 0x3f575c64, v109 :: v_dual_sub_f32 v121, v56, v42
	s_delay_alu instid0(VALU_DEP_3) | instskip(NEXT) | instid1(VALU_DEP_3)
	v_fma_f32 v38, 0x3f575c64, v107, -v95
	v_dual_mul_f32 v97, 0xbf68dda4, v116 :: v_dual_add_f32 v112, v41, v59
	s_delay_alu instid0(VALU_DEP_3) | instskip(SKIP_1) | instid1(VALU_DEP_4)
	v_dual_fmamk_f32 v39, v120, 0xbf0a6770, v96 :: v_dual_sub_f32 v118, v59, v41
	v_mul_f32_e32 v98, 0x3ed4b147, v111
	v_add_f32_e32 v38, v44, v38
	s_delay_alu instid0(VALU_DEP_4) | instskip(NEXT) | instid1(VALU_DEP_4)
	v_fma_f32 v101, 0x3ed4b147, v108, -v97
	v_dual_add_f32 v39, v45, v39 :: v_dual_add_f32 v110, v40, v58
	s_delay_alu instid0(VALU_DEP_4) | instskip(SKIP_1) | instid1(VALU_DEP_2)
	v_dual_fmamk_f32 v102, v121, 0xbf68dda4, v98 :: v_dual_sub_f32 v123, v58, v40
	v_dual_mul_f32 v99, 0xbf7d64f0, v118 :: v_dual_add_f32 v114, v49, v55
	v_dual_mul_f32 v100, 0xbe11bafb, v112 :: v_dual_add_f32 v39, v102, v39
	v_add_f32_e32 v38, v101, v38
	s_delay_alu instid0(VALU_DEP_3) | instskip(SKIP_1) | instid1(VALU_DEP_4)
	v_fma_f32 v102, 0xbe11bafb, v110, -v99
	v_dual_add_f32 v113, v51, v53 :: v_dual_sub_f32 v124, v52, v50
	v_fmamk_f32 v103, v123, 0xbf7d64f0, v100
	s_delay_alu instid0(VALU_DEP_3) | instskip(NEXT) | instid1(VALU_DEP_3)
	v_dual_sub_f32 v119, v53, v51 :: v_dual_add_f32 v38, v102, v38
	v_dual_add_f32 v105, v50, v52 :: v_dual_mul_f32 v102, 0xbf27a4f4, v113
	v_dual_sub_f32 v117, v55, v49 :: v_dual_sub_f32 v122, v54, v48
	s_delay_alu instid0(VALU_DEP_3) | instskip(SKIP_1) | instid1(VALU_DEP_4)
	v_mul_f32_e32 v101, 0xbf4178ce, v119
	v_dual_add_f32 v39, v103, v39 :: v_dual_add_f32 v106, v48, v54
	v_fmamk_f32 v126, v124, 0xbf4178ce, v102
	v_mul_f32_e32 v104, 0xbf75a155, v114
	s_delay_alu instid0(VALU_DEP_4)
	v_fma_f32 v125, 0xbf27a4f4, v105, -v101
	v_mul_f32_e32 v103, 0xbe903f40, v117
	global_wb scope:SCOPE_SE
	v_add_f32_e32 v39, v126, v39
	v_fmamk_f32 v126, v122, 0xbe903f40, v104
	v_add_f32_e32 v38, v125, v38
	v_fma_f32 v125, 0xbf75a155, v106, -v103
	s_barrier_signal -1
	s_barrier_wait -1
	v_add_f32_e32 v39, v126, v39
	global_inv scope:SCOPE_SE
	v_add_f32_e32 v38, v125, v38
	s_and_saveexec_b32 s1, vcc_lo
	s_cbranch_execz .LBB0_17
; %bb.16:
	v_mul_f32_e32 v159, 0xbf0a6770, v119
	v_mul_f32_e32 v158, 0xbf4178ce, v122
	;; [unrolled: 1-line block ×5, first 2 shown]
	v_fma_f32 v163, 0x3f575c64, v105, -v159
	v_mul_f32_e32 v153, 0xbf0a6770, v124
	v_fmamk_f32 v162, v114, 0xbf27a4f4, v158
	v_fma_f32 v144, 0xbf27a4f4, v108, -v142
	v_dual_fmamk_f32 v126, v111, 0xbf27a4f4, v132 :: v_dual_mul_f32 v137, 0xbf27a4f4, v105
	s_delay_alu instid0(VALU_DEP_4) | instskip(SKIP_3) | instid1(VALU_DEP_3)
	v_fmamk_f32 v157, v113, 0x3f575c64, v153
	v_mul_f32_e32 v139, 0xbf68dda4, v115
	v_dual_mul_f32 v147, 0xbf7d64f0, v120 :: v_dual_mul_f32 v152, 0xbf7d64f0, v115
	v_dual_mul_f32 v145, 0x3e903f40, v118 :: v_dual_mul_f32 v150, 0x3e903f40, v121
	v_fma_f32 v128, 0x3ed4b147, v107, -v139
	v_mul_f32_e32 v129, 0x3f575c64, v107
	s_delay_alu instid0(VALU_DEP_4)
	v_fmamk_f32 v149, v109, 0xbe11bafb, v147
	v_mul_f32_e32 v140, 0x3f7d64f0, v124
	v_mul_f32_e32 v146, 0x3f0a6770, v122
	v_dual_add_f32 v128, v44, v128 :: v_dual_fmamk_f32 v125, v109, 0x3ed4b147, v127
	v_mul_f32_e32 v130, 0xbf0a6770, v120
	v_mul_f32_e32 v171, 0xbe903f40, v120
	v_fma_f32 v155, 0xbe11bafb, v107, -v152
	v_mul_f32_e32 v143, 0xbe903f40, v122
	v_dual_add_f32 v125, v45, v125 :: v_dual_mul_f32 v134, 0xbe11bafb, v110
	v_mul_f32_e32 v170, 0xbf0a6770, v118
	v_mul_f32_e32 v174, 0x3f0a6770, v121
	s_delay_alu instid0(VALU_DEP_3) | instskip(SKIP_3) | instid1(VALU_DEP_3)
	v_dual_sub_f32 v96, v96, v130 :: v_dual_add_f32 v125, v126, v125
	v_mul_f32_e32 v136, 0x3e903f40, v123
	v_dual_mul_f32 v141, 0xbf75a155, v106 :: v_dual_add_f32 v46, v46, v44
	v_mul_f32_e32 v161, 0x3f7d64f0, v121
	v_dual_fmamk_f32 v173, v109, 0xbf75a155, v171 :: v_dual_fmamk_f32 v126, v112, 0xbf75a155, v136
	v_fma_f32 v171, 0xbf75a155, v109, -v171
	s_delay_alu instid0(VALU_DEP_4) | instskip(NEXT) | instid1(VALU_DEP_4)
	v_add_f32_e32 v56, v56, v46
	v_fmamk_f32 v164, v111, 0xbe11bafb, v161
	v_add_f32_e32 v47, v47, v45
	v_dual_add_f32 v125, v126, v125 :: v_dual_fmamk_f32 v126, v113, 0xbe11bafb, v140
	v_dual_mul_f32 v138, 0xbf4178ce, v124 :: v_dual_add_f32 v171, v45, v171
	v_mul_f32_e32 v156, 0x3e903f40, v116
	v_add_f32_e32 v56, v58, v56
	s_delay_alu instid0(VALU_DEP_4) | instskip(SKIP_2) | instid1(VALU_DEP_4)
	v_dual_add_f32 v125, v126, v125 :: v_dual_add_f32 v126, v144, v128
	v_fma_f32 v128, 0xbf75a155, v110, -v145
	v_mul_f32_e32 v144, 0x3f7d64f0, v119
	v_add_f32_e32 v52, v52, v56
	v_add_f32_e32 v58, v129, v95
	s_delay_alu instid0(VALU_DEP_4) | instskip(NEXT) | instid1(VALU_DEP_4)
	v_dual_add_f32 v47, v57, v47 :: v_dual_add_f32 v128, v128, v126
	v_fma_f32 v151, 0xbe11bafb, v105, -v144
	v_mul_f32_e32 v133, 0xbf68dda4, v121
	v_fmac_f32_e32 v144, 0xbe11bafb, v105
	v_dual_add_f32 v52, v54, v52 :: v_dual_fmac_f32 v145, 0xbf75a155, v110
	s_delay_alu instid0(VALU_DEP_4) | instskip(SKIP_2) | instid1(VALU_DEP_4)
	v_dual_add_f32 v128, v151, v128 :: v_dual_mul_f32 v151, 0x3f0a6770, v117
	v_fmamk_f32 v148, v114, 0x3f575c64, v146
	v_mul_f32_e32 v131, 0x3ed4b147, v108
	v_add_f32_e32 v48, v48, v52
	v_sub_f32_e32 v52, v102, v138
	v_fma_f32 v154, 0x3f575c64, v106, -v151
	v_add_f32_e32 v126, v148, v125
	v_dual_add_f32 v125, v45, v149 :: v_dual_fmamk_f32 v148, v111, 0xbf75a155, v150
	v_mul_f32_e32 v149, 0x3f68dda4, v123
	v_dual_fmac_f32 v151, 0x3f575c64, v106 :: v_dual_add_f32 v56, v131, v97
	s_delay_alu instid0(VALU_DEP_3) | instskip(NEXT) | instid1(VALU_DEP_3)
	v_dual_add_f32 v48, v50, v48 :: v_dual_add_f32 v125, v148, v125
	v_fmamk_f32 v148, v112, 0x3ed4b147, v149
	v_mul_f32_e32 v135, 0xbf7d64f0, v123
	v_fmac_f32_e32 v142, 0xbf27a4f4, v108
	s_delay_alu instid0(VALU_DEP_4)
	v_add_f32_e32 v40, v40, v48
	v_add_f32_e32 v48, v141, v103
	v_dual_add_f32 v148, v148, v125 :: v_dual_add_f32 v125, v154, v128
	v_add_f32_e32 v128, v44, v155
	v_fma_f32 v154, 0xbf75a155, v108, -v156
	v_add_f32_e32 v42, v42, v40
	s_delay_alu instid0(VALU_DEP_4) | instskip(SKIP_1) | instid1(VALU_DEP_4)
	v_add_f32_e32 v148, v157, v148
	v_mul_f32_e32 v157, 0xbf4178ce, v120
	v_dual_fmac_f32 v139, 0x3ed4b147, v107 :: v_dual_add_f32 v128, v154, v128
	s_delay_alu instid0(VALU_DEP_4) | instskip(NEXT) | instid1(VALU_DEP_3)
	v_dual_add_f32 v36, v36, v42 :: v_dual_add_f32 v47, v59, v47
	v_fmamk_f32 v160, v109, 0xbf27a4f4, v157
	v_mul_f32_e32 v155, 0x3f68dda4, v118
	s_delay_alu instid0(VALU_DEP_3) | instskip(NEXT) | instid1(VALU_DEP_3)
	v_add_f32_e32 v47, v53, v47
	v_add_f32_e32 v160, v45, v160
	s_delay_alu instid0(VALU_DEP_3) | instskip(SKIP_2) | instid1(VALU_DEP_4)
	v_fma_f32 v154, 0x3ed4b147, v110, -v155
	v_fmac_f32_e32 v155, 0x3ed4b147, v110
	v_sub_f32_e32 v53, v98, v133
	v_dual_add_f32 v47, v55, v47 :: v_dual_add_f32 v160, v164, v160
	s_delay_alu instid0(VALU_DEP_4) | instskip(SKIP_2) | instid1(VALU_DEP_3)
	v_add_f32_e32 v154, v154, v128
	v_dual_add_f32 v128, v162, v148 :: v_dual_mul_f32 v165, 0xbf0a6770, v123
	v_mul_f32_e32 v123, 0xbf4178ce, v123
	v_dual_fmac_f32 v159, 0x3f575c64, v105 :: v_dual_add_f32 v148, v163, v154
	v_mul_f32_e32 v154, 0xbf4178ce, v115
	s_delay_alu instid0(VALU_DEP_4) | instskip(SKIP_2) | instid1(VALU_DEP_4)
	v_fmamk_f32 v162, v112, 0x3f575c64, v165
	v_mul_f32_e32 v115, 0xbe903f40, v115
	v_dual_mul_f32 v118, 0xbf4178ce, v118 :: v_dual_add_f32 v47, v49, v47
	v_fma_f32 v166, 0xbf27a4f4, v107, -v154
	v_mul_f32_e32 v163, 0xbe903f40, v124
	v_add_f32_e32 v160, v162, v160
	v_mul_f32_e32 v124, 0x3f68dda4, v124
	v_fma_f32 v175, 0xbf75a155, v107, -v115
	v_dual_add_f32 v166, v44, v166 :: v_dual_mul_f32 v167, 0x3f7d64f0, v116
	v_fmamk_f32 v162, v113, 0xbf75a155, v163
	v_mul_f32_e32 v116, 0x3f0a6770, v116
	v_fmac_f32_e32 v115, 0xbf75a155, v107
	v_fmac_f32_e32 v154, 0xbf27a4f4, v107
	v_fma_f32 v169, 0xbe11bafb, v108, -v167
	v_add_f32_e32 v160, v162, v160
	v_mul_f32_e32 v162, 0x3f68dda4, v122
	v_dual_mul_f32 v122, 0xbf7d64f0, v122 :: v_dual_add_f32 v49, v134, v99
	s_delay_alu instid0(VALU_DEP_4)
	v_add_f32_e32 v120, v169, v166
	v_fma_f32 v166, 0x3f575c64, v110, -v170
	v_mul_f32_e32 v169, 0xbe903f40, v119
	v_mul_f32_e32 v119, 0x3f68dda4, v119
	v_fmamk_f32 v172, v114, 0x3ed4b147, v162
	v_fmac_f32_e32 v167, 0xbe11bafb, v108
	v_add_f32_e32 v120, v166, v120
	v_fma_f32 v166, 0xbf75a155, v105, -v169
	v_fmac_f32_e32 v169, 0xbf75a155, v105
	v_dual_add_f32 v121, v172, v160 :: v_dual_add_f32 v160, v45, v173
	v_fmamk_f32 v172, v111, 0x3f575c64, v174
	s_delay_alu instid0(VALU_DEP_4) | instskip(SKIP_2) | instid1(VALU_DEP_4)
	v_add_f32_e32 v120, v166, v120
	v_mul_f32_e32 v166, 0x3f68dda4, v117
	v_fma_f32 v174, 0x3f575c64, v111, -v174
	v_dual_add_f32 v47, v51, v47 :: v_dual_add_f32 v160, v172, v160
	v_fmamk_f32 v172, v112, 0xbf27a4f4, v123
	s_delay_alu instid0(VALU_DEP_4) | instskip(NEXT) | instid1(VALU_DEP_4)
	v_fma_f32 v173, 0x3ed4b147, v106, -v166
	v_add_f32_e32 v171, v174, v171
	v_fma_f32 v123, 0xbf27a4f4, v112, -v123
	v_add_f32_e32 v174, v44, v115
	v_add_f32_e32 v41, v41, v47
	v_dual_add_f32 v120, v173, v120 :: v_dual_add_f32 v173, v44, v175
	v_fma_f32 v175, 0x3f575c64, v108, -v116
	v_add_f32_e32 v123, v123, v171
	v_dual_mul_f32 v171, 0xbf7d64f0, v117 :: v_dual_add_f32 v160, v172, v160
	v_fmamk_f32 v172, v113, 0x3ed4b147, v124
	v_fmac_f32_e32 v116, 0x3f575c64, v108
	v_fma_f32 v124, 0x3ed4b147, v113, -v124
	v_mul_f32_e32 v164, 0xbf4178ce, v117
	v_fma_f32 v117, 0xbf27a4f4, v109, -v157
	v_fma_f32 v157, 0xbe11bafb, v106, -v171
	v_fmac_f32_e32 v171, 0xbe11bafb, v106
	v_add_f32_e32 v123, v124, v123
	v_add_f32_e32 v160, v172, v160
	;; [unrolled: 1-line block ×3, first 2 shown]
	v_fma_f32 v173, 0xbf27a4f4, v110, -v118
	v_dual_fmamk_f32 v175, v114, 0xbe11bafb, v122 :: v_dual_add_f32 v116, v116, v174
	v_fmac_f32_e32 v118, 0xbf27a4f4, v110
	v_fma_f32 v122, 0xbe11bafb, v114, -v122
	s_delay_alu instid0(VALU_DEP_4) | instskip(SKIP_4) | instid1(VALU_DEP_4)
	v_add_f32_e32 v172, v173, v172
	v_fma_f32 v173, 0x3ed4b147, v105, -v119
	v_add_f32_e32 v115, v175, v160
	v_dual_add_f32 v116, v118, v116 :: v_dual_fmac_f32 v119, 0x3ed4b147, v105
	v_add_f32_e32 v118, v45, v117
	v_add_f32_e32 v160, v173, v172
	v_fma_f32 v124, 0xbe11bafb, v111, -v161
	s_delay_alu instid0(VALU_DEP_4)
	v_dual_add_f32 v117, v122, v123 :: v_dual_add_f32 v116, v119, v116
	v_fma_f32 v123, 0xbe11bafb, v109, -v147
	v_fma_f32 v109, 0x3ed4b147, v109, -v127
	;; [unrolled: 1-line block ×3, first 2 shown]
	v_add_f32_e32 v122, v44, v154
	v_fma_f32 v168, 0xbf27a4f4, v106, -v164
	v_add_f32_e32 v123, v45, v123
	v_add_f32_e32 v127, v45, v109
	v_dual_add_f32 v45, v45, v96 :: v_dual_add_f32 v118, v124, v118
	v_add_f32_e32 v122, v167, v122
	v_fma_f32 v124, 0xbf75a155, v111, -v150
	v_dual_fmac_f32 v152, 0xbe11bafb, v107 :: v_dual_add_f32 v43, v43, v41
	s_delay_alu instid0(VALU_DEP_4) | instskip(SKIP_4) | instid1(VALU_DEP_3)
	v_dual_add_f32 v45, v53, v45 :: v_dual_add_f32 v118, v119, v118
	v_sub_f32_e32 v53, v100, v135
	v_fma_f32 v119, 0xbf75a155, v113, -v163
	v_dual_fmac_f32 v170, 0x3f575c64, v110 :: v_dual_add_f32 v123, v124, v123
	v_fma_f32 v124, 0x3ed4b147, v112, -v149
	v_dual_add_f32 v45, v53, v45 :: v_dual_add_f32 v118, v119, v118
	v_fma_f32 v119, 0x3ed4b147, v114, -v162
	s_delay_alu instid0(VALU_DEP_4) | instskip(NEXT) | instid1(VALU_DEP_3)
	v_add_f32_e32 v122, v170, v122
	v_dual_add_f32 v116, v171, v116 :: v_dual_add_f32 v45, v52, v45
	v_dual_fmac_f32 v156, 0xbf75a155, v108 :: v_dual_add_f32 v37, v37, v43
	s_delay_alu instid0(VALU_DEP_4) | instskip(NEXT) | instid1(VALU_DEP_4)
	v_add_f32_e32 v119, v119, v118
	v_dual_add_f32 v118, v169, v122 :: v_dual_sub_f32 v47, v104, v143
	v_add_f32_e32 v122, v124, v123
	v_fma_f32 v123, 0x3f575c64, v113, -v153
	v_add_f32_e32 v124, v44, v152
	v_fma_f32 v111, 0xbf27a4f4, v111, -v132
	;; [unrolled: 2-line block ×4, first 2 shown]
	v_dual_add_f32 v124, v156, v124 :: v_dual_add_f32 v107, v111, v127
	v_fma_f32 v111, 0xbf75a155, v112, -v136
	v_fmac_f32_e32 v164, 0xbf27a4f4, v106
	s_delay_alu instid0(VALU_DEP_4)
	v_add_f32_e32 v109, v123, v122
	v_fmac_f32_e32 v166, 0x3ed4b147, v106
	v_add_f32_e32 v122, v44, v139
	v_add_f32_e32 v44, v44, v58
	;; [unrolled: 1-line block ×4, first 2 shown]
	v_fma_f32 v110, 0x3f575c64, v114, -v146
	v_add_f32_e32 v118, v166, v118
	v_add_f32_e32 v44, v56, v44
	v_dual_add_f32 v111, v159, v112 :: v_dual_add_f32 v112, v142, v122
	v_dual_add_f32 v107, v108, v107 :: v_dual_add_f32 v114, v157, v160
	s_delay_alu instid0(VALU_DEP_3) | instskip(SKIP_1) | instid1(VALU_DEP_4)
	v_add_f32_e32 v44, v49, v44
	v_add_f32_e32 v49, v137, v101
	;; [unrolled: 1-line block ×4, first 2 shown]
	v_dual_add_f32 v46, v110, v107 :: v_dual_add_f32 v127, v168, v148
	s_delay_alu instid0(VALU_DEP_4) | instskip(NEXT) | instid1(VALU_DEP_4)
	v_dual_add_f32 v44, v49, v44 :: v_dual_and_b32 v49, 0xffff, v86
	v_add_f32_e32 v57, v144, v112
	s_delay_alu instid0(VALU_DEP_2) | instskip(NEXT) | instid1(VALU_DEP_3)
	v_add_f32_e32 v40, v48, v44
	v_lshlrev_b32_e32 v42, 3, v49
	s_delay_alu instid0(VALU_DEP_3)
	v_add_f32_e32 v45, v151, v57
	ds_store_2addr_b64 v42, v[36:37], v[40:41] offset1:1
	ds_store_2addr_b64 v42, v[45:46], v[108:109] offset0:2 offset1:3
	ds_store_2addr_b64 v42, v[118:119], v[116:117] offset0:4 offset1:5
	;; [unrolled: 1-line block ×4, first 2 shown]
	ds_store_b64 v42, v[38:39] offset:80
.LBB0_17:
	s_wait_alu 0xfffe
	s_or_b32 exec_lo, exec_lo, s1
	v_add_nc_u32_e32 v58, 0x1200, v85
	v_add_nc_u32_e32 v36, 0x1c00, v85
	;; [unrolled: 1-line block ×3, first 2 shown]
	global_wb scope:SCOPE_SE
	s_wait_dscnt 0x0
	s_barrier_signal -1
	s_barrier_wait -1
	global_inv scope:SCOPE_SE
	ds_load_2addr_b64 v[42:45], v58 offset0:40 offset1:194
	ds_load_2addr_b64 v[46:49], v36 offset0:28 offset1:182
	;; [unrolled: 1-line block ×3, first 2 shown]
	s_wait_dscnt 0x1
	v_mul_f32_e32 v40, v70, v47
	v_mul_f32_e32 v59, v66, v49
	v_dual_mul_f32 v41, v70, v46 :: v_dual_add_nc_u32 v36, 0x800, v85
	s_wait_dscnt 0x0
	v_dual_mul_f32 v37, v68, v44 :: v_dual_mul_f32 v70, v62, v53
	s_delay_alu instid0(VALU_DEP_3)
	v_fmac_f32_e32 v59, v65, v48
	ds_load_2addr_b64 v[54:57], v85 offset1:154
	ds_load_2addr_b64 v[95:98], v36 offset0:52 offset1:206
	v_mul_f32_e32 v36, v68, v45
	v_mul_f32_e32 v68, v64, v51
	v_fma_f32 v41, v69, v47, -v41
	v_mul_f32_e32 v64, v64, v50
	v_fma_f32 v37, v67, v45, -v37
	v_mul_f32_e32 v66, v66, v48
	v_fmac_f32_e32 v68, v63, v50
	v_fmac_f32_e32 v70, v61, v52
	global_wb scope:SCOPE_SE
	s_wait_dscnt 0x0
	s_barrier_signal -1
	s_barrier_wait -1
	global_inv scope:SCOPE_SE
	v_sub_f32_e32 v45, v55, v37
	v_sub_f32_e32 v47, v57, v41
	v_fma_f32 v63, v63, v51, -v64
	v_fma_f32 v49, v65, v49, -v66
	v_mul_f32_e32 v62, v62, v52
	v_sub_f32_e32 v48, v95, v59
	v_fma_f32 v51, v55, 2.0, -v45
	v_sub_f32_e32 v41, v98, v63
	v_dual_sub_f32 v49, v96, v49 :: v_dual_fmac_f32 v36, v67, v44
	v_fma_f32 v61, v61, v53, -v62
	v_fmac_f32_e32 v40, v69, v46
	v_fma_f32 v53, v57, 2.0, -v47
	s_delay_alu instid0(VALU_DEP_4) | instskip(NEXT) | instid1(VALU_DEP_4)
	v_fma_f32 v55, v96, 2.0, -v49
	v_dual_sub_f32 v44, v54, v36 :: v_dual_sub_f32 v37, v43, v61
	s_delay_alu instid0(VALU_DEP_4) | instskip(SKIP_2) | instid1(VALU_DEP_4)
	v_sub_f32_e32 v46, v56, v40
	v_sub_f32_e32 v40, v97, v68
	;; [unrolled: 1-line block ×3, first 2 shown]
	v_fma_f32 v50, v54, 2.0, -v44
	v_fma_f32 v54, v95, 2.0, -v48
	;; [unrolled: 1-line block ×7, first 2 shown]
	ds_store_2addr_b64 v93, v[50:51], v[44:45] offset1:11
	ds_store_2addr_b64 v92, v[52:53], v[46:47] offset1:11
	;; [unrolled: 1-line block ×5, first 2 shown]
	v_add_nc_u32_e32 v48, 0xd00, v85
	v_add_nc_u32_e32 v49, 0x1b00, v85
	global_wb scope:SCOPE_SE
	s_wait_dscnt 0x0
	s_barrier_signal -1
	s_barrier_wait -1
	global_inv scope:SCOPE_SE
	ds_load_2addr_b64 v[44:47], v85 offset1:220
	ds_load_2addr_b64 v[52:55], v48 offset0:24 offset1:244
	ds_load_2addr_b64 v[48:51], v49 offset0:16 offset1:236
	ds_load_b64 v[56:57], v85 offset:10560
	s_and_saveexec_b32 s1, s0
	s_cbranch_execz .LBB0_19
; %bb.18:
	v_add_nc_u32_e32 v32, 0x400, v85
	v_add_nc_u32_e32 v33, 0x2000, v85
	ds_load_2addr_b64 v[36:39], v58 offset0:18 offset1:238
	ds_load_2addr_b64 v[40:43], v32 offset0:26 offset1:246
	;; [unrolled: 1-line block ×3, first 2 shown]
	ds_load_b64 v[81:82], v85 offset:11792
.LBB0_19:
	s_wait_alu 0xfffe
	s_or_b32 exec_lo, exec_lo, s1
	s_wait_dscnt 0x2
	v_dual_mul_f32 v58, v21, v47 :: v_dual_mul_f32 v59, v23, v53
	v_mul_f32_e32 v21, v21, v46
	v_mul_f32_e32 v23, v23, v52
	global_wb scope:SCOPE_SE
	s_wait_dscnt 0x0
	v_fmac_f32_e32 v58, v20, v46
	v_mul_f32_e32 v46, v19, v49
	v_fma_f32 v20, v20, v47, -v21
	v_fmac_f32_e32 v59, v22, v52
	v_fma_f32 v22, v22, v53, -v23
	v_mul_f32_e32 v23, v13, v51
	v_mul_f32_e32 v13, v13, v50
	v_dual_mul_f32 v21, v17, v55 :: v_dual_fmac_f32 v46, v18, v48
	v_mul_f32_e32 v19, v19, v48
	s_delay_alu instid0(VALU_DEP_4) | instskip(NEXT) | instid1(VALU_DEP_4)
	v_fmac_f32_e32 v23, v12, v50
	v_fma_f32 v12, v12, v51, -v13
	v_mul_f32_e32 v17, v17, v54
	v_fmac_f32_e32 v21, v16, v54
	s_barrier_signal -1
	s_barrier_wait -1
	global_inv scope:SCOPE_SE
	v_fma_f32 v16, v16, v55, -v17
	v_mul_f32_e32 v17, v15, v57
	v_mul_f32_e32 v15, v15, v56
	s_delay_alu instid0(VALU_DEP_2) | instskip(NEXT) | instid1(VALU_DEP_2)
	v_fmac_f32_e32 v17, v14, v56
	v_fma_f32 v14, v14, v57, -v15
	v_fma_f32 v15, v18, v49, -v19
	s_delay_alu instid0(VALU_DEP_2) | instskip(SKIP_1) | instid1(VALU_DEP_3)
	v_add_f32_e32 v18, v20, v14
	v_sub_f32_e32 v14, v20, v14
	v_dual_add_f32 v20, v22, v12 :: v_dual_add_f32 v47, v16, v15
	v_sub_f32_e32 v12, v22, v12
	v_dual_add_f32 v22, v21, v46 :: v_dual_sub_f32 v21, v46, v21
	s_delay_alu instid0(VALU_DEP_3) | instskip(NEXT) | instid1(VALU_DEP_4)
	v_add_f32_e32 v46, v20, v18
	v_dual_sub_f32 v49, v20, v18 :: v_dual_sub_f32 v20, v47, v20
	v_add_f32_e32 v19, v59, v23
	v_sub_f32_e32 v23, v59, v23
	v_add_f32_e32 v13, v58, v17
	s_delay_alu instid0(VALU_DEP_2) | instskip(NEXT) | instid1(VALU_DEP_2)
	v_dual_sub_f32 v15, v15, v16 :: v_dual_sub_f32 v52, v21, v23
	v_add_f32_e32 v16, v19, v13
	s_delay_alu instid0(VALU_DEP_2) | instskip(NEXT) | instid1(VALU_DEP_2)
	v_dual_sub_f32 v50, v13, v22 :: v_dual_add_f32 v51, v15, v12
	v_add_f32_e32 v16, v22, v16
	v_sub_f32_e32 v48, v19, v13
	v_sub_f32_e32 v17, v58, v17
	;; [unrolled: 1-line block ×4, first 2 shown]
	v_add_f32_e32 v22, v47, v46
	v_sub_f32_e32 v46, v12, v14
	v_add_f32_e32 v12, v44, v16
	v_dual_mul_f32 v44, 0x3f4a47b2, v50 :: v_dual_sub_f32 v15, v14, v15
	v_add_f32_e32 v14, v51, v14
	v_sub_f32_e32 v18, v18, v47
	s_delay_alu instid0(VALU_DEP_4) | instskip(SKIP_2) | instid1(VALU_DEP_4)
	v_fmamk_f32 v16, v16, 0xbf955555, v12
	v_mul_f32_e32 v51, 0x3f08b237, v53
	v_mul_f32_e32 v53, 0xbf5ff5aa, v46
	v_dual_add_f32 v13, v21, v23 :: v_dual_mul_f32 v18, 0x3f4a47b2, v18
	v_mul_f32_e32 v50, 0x3f08b237, v52
	s_delay_alu instid0(VALU_DEP_4)
	v_fma_f32 v46, 0xbf5ff5aa, v46, -v51
	v_sub_f32_e32 v21, v17, v21
	v_sub_f32_e32 v23, v23, v17
	v_add_f32_e32 v17, v13, v17
	v_add_f32_e32 v13, v45, v22
	v_fmac_f32_e32 v46, 0xbee1c552, v14
	v_dual_mul_f32 v47, 0x3d64c772, v20 :: v_dual_fmamk_f32 v20, v20, 0x3d64c772, v18
	v_fma_f32 v18, 0xbf3bfb3b, v49, -v18
	s_delay_alu instid0(VALU_DEP_2) | instskip(SKIP_2) | instid1(VALU_DEP_2)
	v_fma_f32 v47, 0x3f3bfb3b, v49, -v47
	v_fmamk_f32 v49, v15, 0xbeae86e6, v51
	v_fma_f32 v51, 0x3eae86e6, v15, -v53
	v_fmac_f32_e32 v49, 0xbee1c552, v14
	v_mul_f32_e32 v45, 0x3d64c772, v19
	v_fmamk_f32 v19, v19, 0x3d64c772, v44
	v_fma_f32 v44, 0xbf3bfb3b, v48, -v44
	v_fmac_f32_e32 v51, 0xbee1c552, v14
	s_delay_alu instid0(VALU_DEP_4) | instskip(NEXT) | instid1(VALU_DEP_3)
	v_fma_f32 v45, 0x3f3bfb3b, v48, -v45
	v_add_f32_e32 v44, v44, v16
	v_fmamk_f32 v22, v22, 0xbf955555, v13
	v_fmamk_f32 v48, v21, 0xbeae86e6, v50
	v_mul_f32_e32 v52, 0xbf5ff5aa, v23
	v_fma_f32 v23, 0xbf5ff5aa, v23, -v50
	s_delay_alu instid0(VALU_DEP_4) | instskip(NEXT) | instid1(VALU_DEP_3)
	v_dual_add_f32 v53, v20, v22 :: v_dual_add_f32 v20, v45, v16
	v_fma_f32 v50, 0x3eae86e6, v21, -v52
	v_add_f32_e32 v45, v18, v22
	s_delay_alu instid0(VALU_DEP_3) | instskip(SKIP_4) | instid1(VALU_DEP_3)
	v_sub_f32_e32 v18, v20, v46
	v_add_f32_e32 v20, v46, v20
	v_add_f32_e32 v52, v19, v16
	v_dual_fmac_f32 v48, 0xbee1c552, v17 :: v_dual_add_f32 v21, v47, v22
	v_fmac_f32_e32 v50, 0xbee1c552, v17
	v_dual_fmac_f32 v23, 0xbee1c552, v17 :: v_dual_add_f32 v14, v49, v52
	s_delay_alu instid0(VALU_DEP_3) | instskip(SKIP_1) | instid1(VALU_DEP_3)
	v_sub_f32_e32 v15, v53, v48
	v_add_f32_e32 v16, v51, v44
	v_dual_sub_f32 v22, v44, v51 :: v_dual_add_f32 v19, v23, v21
	v_dual_sub_f32 v44, v52, v49 :: v_dual_sub_f32 v17, v45, v50
	v_sub_f32_e32 v21, v21, v23
	v_add_f32_e32 v23, v50, v45
	v_add_f32_e32 v45, v48, v53
	ds_store_2addr_b64 v94, v[12:13], v[14:15] offset1:22
	ds_store_2addr_b64 v94, v[16:17], v[18:19] offset0:44 offset1:66
	ds_store_2addr_b64 v94, v[20:21], v[22:23] offset0:88 offset1:110
	ds_store_b64 v94, v[44:45] offset:1056
	s_and_saveexec_b32 s1, s0
	s_cbranch_execz .LBB0_21
; %bb.20:
	v_dual_mul_f32 v12, v3, v33 :: v_dual_mul_f32 v13, v1, v39
	v_dual_mul_f32 v14, v9, v43 :: v_dual_mul_f32 v15, v7, v82
	;; [unrolled: 1-line block ×3, first 2 shown]
	s_delay_alu instid0(VALU_DEP_3) | instskip(NEXT) | instid1(VALU_DEP_3)
	v_dual_fmac_f32 v12, v2, v32 :: v_dual_fmac_f32 v13, v0, v38
	v_dual_mul_f32 v7, v7, v81 :: v_dual_fmac_f32 v14, v8, v42
	s_delay_alu instid0(VALU_DEP_4) | instskip(NEXT) | instid1(VALU_DEP_3)
	v_dual_fmac_f32 v15, v6, v81 :: v_dual_mul_f32 v18, v5, v35
	v_dual_sub_f32 v17, v12, v13 :: v_dual_fmac_f32 v16, v10, v36
	s_delay_alu instid0(VALU_DEP_3) | instskip(NEXT) | instid1(VALU_DEP_3)
	v_fma_f32 v6, v6, v82, -v7
	v_dual_mul_f32 v7, v11, v36 :: v_dual_fmac_f32 v18, v4, v34
	v_mul_f32_e32 v1, v1, v38
	v_mul_f32_e32 v3, v3, v32
	v_fma_f32 v8, v8, v43, -v9
	v_mul_f32_e32 v5, v5, v34
	v_fma_f32 v7, v10, v37, -v7
	v_fma_f32 v0, v0, v39, -v1
	v_sub_f32_e32 v10, v16, v18
	v_fma_f32 v2, v2, v33, -v3
	v_fma_f32 v5, v4, v35, -v5
	v_add_f32_e32 v4, v6, v8
	v_add_f32_e32 v12, v13, v12
	;; [unrolled: 1-line block ×5, first 2 shown]
	v_dual_sub_f32 v5, v7, v5 :: v_dual_sub_f32 v2, v2, v0
	s_delay_alu instid0(VALU_DEP_4) | instskip(NEXT) | instid1(VALU_DEP_4)
	v_sub_f32_e32 v7, v12, v13
	v_dual_sub_f32 v20, v4, v1 :: v_dual_sub_f32 v11, v14, v15
	s_delay_alu instid0(VALU_DEP_4) | instskip(SKIP_1) | instid1(VALU_DEP_3)
	v_sub_f32_e32 v22, v1, v9
	v_add_f32_e32 v14, v15, v14
	v_dual_sub_f32 v19, v17, v10 :: v_dual_mul_f32 v20, 0x3f4a47b2, v20
	s_delay_alu instid0(VALU_DEP_4) | instskip(NEXT) | instid1(VALU_DEP_3)
	v_sub_f32_e32 v21, v11, v17
	v_dual_add_f32 v17, v17, v10 :: v_dual_sub_f32 v16, v14, v12
	s_delay_alu instid0(VALU_DEP_3) | instskip(NEXT) | instid1(VALU_DEP_4)
	v_dual_mul_f32 v19, 0x3f08b237, v19 :: v_dual_add_f32 v18, v13, v14
	v_dual_fmamk_f32 v32, v22, 0x3d64c772, v20 :: v_dual_add_f32 v3, v9, v4
	s_delay_alu instid0(VALU_DEP_3) | instskip(SKIP_1) | instid1(VALU_DEP_4)
	v_dual_add_f32 v17, v17, v11 :: v_dual_sub_f32 v6, v8, v6
	v_sub_f32_e32 v4, v9, v4
	v_dual_fmamk_f32 v23, v21, 0xbeae86e6, v19 :: v_dual_add_f32 v12, v12, v18
	s_delay_alu instid0(VALU_DEP_4) | instskip(SKIP_1) | instid1(VALU_DEP_3)
	v_dual_add_f32 v3, v1, v3 :: v_dual_mul_f32 v16, 0x3f4a47b2, v16
	v_sub_f32_e32 v8, v2, v5
	v_dual_fmac_f32 v23, 0xbee1c552, v17 :: v_dual_sub_f32 v10, v10, v11
	s_delay_alu instid0(VALU_DEP_3) | instskip(SKIP_1) | instid1(VALU_DEP_4)
	v_add_f32_e32 v1, v41, v3
	v_dual_mul_f32 v15, 0x3d64c772, v22 :: v_dual_add_f32 v0, v40, v12
	v_mul_f32_e32 v8, 0x3f08b237, v8
	s_delay_alu instid0(VALU_DEP_4) | instskip(NEXT) | instid1(VALU_DEP_4)
	v_mul_f32_e32 v22, 0xbf5ff5aa, v10
	v_fmamk_f32 v33, v3, 0xbf955555, v1
	v_mul_f32_e32 v18, 0x3d64c772, v7
	v_fmamk_f32 v9, v12, 0xbf955555, v0
	v_fmamk_f32 v7, v7, 0x3d64c772, v16
	v_fma_f32 v12, 0x3eae86e6, v21, -v22
	v_dual_add_f32 v32, v32, v33 :: v_dual_sub_f32 v11, v6, v2
	v_add_f32_e32 v2, v2, v5
	v_fma_f32 v20, 0xbf3bfb3b, v4, -v20
	s_delay_alu instid0(VALU_DEP_3) | instskip(NEXT) | instid1(VALU_DEP_4)
	v_dual_fmac_f32 v12, 0xbee1c552, v17 :: v_dual_add_f32 v3, v23, v32
	v_dual_fmamk_f32 v34, v11, 0xbeae86e6, v8 :: v_dual_sub_f32 v21, v5, v6
	v_sub_f32_e32 v13, v13, v14
	v_add_f32_e32 v2, v2, v6
	v_add_f32_e32 v6, v20, v33
	v_fma_f32 v4, 0x3f3bfb3b, v4, -v15
	v_mul_f32_e32 v14, 0xbf5ff5aa, v21
	v_fma_f32 v15, 0xbf5ff5aa, v21, -v8
	s_delay_alu instid0(VALU_DEP_4) | instskip(SKIP_1) | instid1(VALU_DEP_4)
	v_dual_add_f32 v20, v7, v9 :: v_dual_add_f32 v5, v12, v6
	v_fma_f32 v7, 0x3f3bfb3b, v13, -v18
	v_fma_f32 v14, 0x3eae86e6, v11, -v14
	s_delay_alu instid0(VALU_DEP_4)
	v_fmac_f32_e32 v15, 0xbee1c552, v2
	v_fmac_f32_e32 v34, 0xbee1c552, v2
	v_fma_f32 v16, 0xbf3bfb3b, v13, -v16
	v_fma_f32 v10, 0xbf5ff5aa, v10, -v19
	v_dual_fmac_f32 v14, 0xbee1c552, v2 :: v_dual_sub_f32 v11, v6, v12
	v_mad_u16 v2, 0x9a, v87, v88
	v_add_f32_e32 v8, v4, v33
	s_delay_alu instid0(VALU_DEP_4) | instskip(SKIP_1) | instid1(VALU_DEP_4)
	v_dual_fmac_f32 v10, 0xbee1c552, v17 :: v_dual_sub_f32 v13, v32, v23
	v_add_f32_e32 v16, v16, v9
	v_dual_add_f32 v17, v7, v9 :: v_dual_and_b32 v2, 0xffff, v2
	s_delay_alu instid0(VALU_DEP_3) | instskip(SKIP_1) | instid1(VALU_DEP_3)
	v_add_f32_e32 v9, v10, v8
	v_dual_add_f32 v12, v34, v20 :: v_dual_sub_f32 v7, v8, v10
	v_lshlrev_b32_e32 v18, 3, v2
	s_delay_alu instid0(VALU_DEP_4)
	v_sub_f32_e32 v8, v17, v15
	v_add_f32_e32 v10, v14, v16
	v_sub_f32_e32 v4, v16, v14
	v_add_f32_e32 v6, v15, v17
	v_sub_f32_e32 v2, v20, v34
	ds_store_2addr_b64 v18, v[0:1], v[12:13] offset1:22
	ds_store_2addr_b64 v18, v[10:11], v[8:9] offset0:44 offset1:66
	ds_store_2addr_b64 v18, v[6:7], v[4:5] offset0:88 offset1:110
	ds_store_b64 v18, v[2:3] offset:1056
.LBB0_21:
	s_wait_alu 0xfffe
	s_or_b32 exec_lo, exec_lo, s1
	v_add_nc_u32_e32 v22, 0x800, v85
	global_wb scope:SCOPE_SE
	s_wait_dscnt 0x0
	s_barrier_signal -1
	s_barrier_wait -1
	global_inv scope:SCOPE_SE
	ds_load_2addr_b64 v[0:3], v22 offset0:52 offset1:206
	v_add_nc_u32_e32 v23, 0x1200, v85
	v_add_nc_u32_e32 v32, 0x1c00, v85
	s_wait_dscnt 0x0
	v_mul_f32_e32 v20, v29, v1
	v_dual_mul_f32 v40, v29, v3 :: v_dual_add_nc_u32 v33, 0x2400, v85
	v_mul_f32_e32 v21, v29, v0
	s_delay_alu instid0(VALU_DEP_3)
	v_dual_mul_f32 v29, v29, v2 :: v_dual_fmac_f32 v20, v28, v0
	ds_load_2addr_b64 v[4:7], v23 offset0:40 offset1:194
	ds_load_2addr_b64 v[8:11], v32 offset0:28 offset1:182
	;; [unrolled: 1-line block ×3, first 2 shown]
	ds_load_2addr_b64 v[16:19], v85 offset1:154
	global_wb scope:SCOPE_SE
	s_wait_dscnt 0x0
	v_fma_f32 v21, v28, v1, -v21
	s_barrier_signal -1
	s_barrier_wait -1
	global_inv scope:SCOPE_SE
	v_dual_mul_f32 v34, v31, v5 :: v_dual_mul_f32 v37, v25, v8
	v_dual_mul_f32 v36, v25, v9 :: v_dual_mul_f32 v41, v31, v7
	v_mul_f32_e32 v38, v27, v13
	v_mul_f32_e32 v39, v27, v12
	;; [unrolled: 1-line block ×3, first 2 shown]
	v_dual_fmac_f32 v34, v30, v4 :: v_dual_mul_f32 v1, v25, v10
	v_dual_fmac_f32 v36, v24, v8 :: v_dual_fmac_f32 v41, v30, v6
	v_fmac_f32_e32 v38, v26, v12
	v_fma_f32 v12, v26, v13, -v39
	v_mul_f32_e32 v13, v27, v15
	v_mul_f32_e32 v0, v31, v6
	v_fma_f32 v35, v30, v5, -v35
	v_fma_f32 v37, v24, v9, -v37
	v_fmac_f32_e32 v40, v28, v2
	v_fma_f32 v28, v28, v3, -v29
	v_add_f32_e32 v2, v16, v20
	v_sub_f32_e32 v3, v21, v12
	v_fma_f32 v29, v30, v7, -v0
	v_dual_add_f32 v0, v34, v36 :: v_dual_add_f32 v7, v20, v38
	v_dual_mul_f32 v30, v25, v11 :: v_dual_fmac_f32 v13, v26, v14
	v_sub_f32_e32 v5, v35, v37
	s_delay_alu instid0(VALU_DEP_3) | instskip(SKIP_1) | instid1(VALU_DEP_4)
	v_fma_f32 v0, -0.5, v0, v16
	v_sub_f32_e32 v4, v20, v34
	v_fmac_f32_e32 v30, v24, v10
	v_fma_f32 v24, v24, v11, -v1
	v_add_f32_e32 v11, v35, v37
	v_dual_add_f32 v1, v2, v34 :: v_dual_fmamk_f32 v2, v3, 0xbf737871, v0
	v_sub_f32_e32 v6, v38, v36
	v_add_f32_e32 v10, v17, v21
	s_delay_alu instid0(VALU_DEP_3) | instskip(NEXT) | instid1(VALU_DEP_3)
	v_dual_fmac_f32 v0, 0x3f737871, v3 :: v_dual_add_f32 v1, v1, v36
	v_dual_fmac_f32 v2, 0xbf167918, v5 :: v_dual_add_f32 v9, v4, v6
	v_fma_f32 v4, -0.5, v7, v16
	v_sub_f32_e32 v7, v36, v38
	s_delay_alu instid0(VALU_DEP_4) | instskip(SKIP_3) | instid1(VALU_DEP_4)
	v_dual_add_f32 v6, v1, v38 :: v_dual_sub_f32 v1, v34, v20
	v_mul_f32_e32 v8, v27, v14
	v_fmac_f32_e32 v2, 0x3e9e377a, v9
	v_add_f32_e32 v25, v40, v13
	v_add_f32_e32 v7, v1, v7
	s_delay_alu instid0(VALU_DEP_4)
	v_fma_f32 v15, v26, v15, -v8
	v_fma_f32 v1, -0.5, v11, v17
	v_dual_sub_f32 v11, v20, v38 :: v_dual_fmamk_f32 v8, v5, 0x3f737871, v4
	v_fmac_f32_e32 v4, 0xbf737871, v5
	v_fmac_f32_e32 v0, 0x3f167918, v5
	v_dual_sub_f32 v26, v40, v13 :: v_dual_sub_f32 v27, v15, v24
	s_delay_alu instid0(VALU_DEP_4) | instskip(NEXT) | instid1(VALU_DEP_4)
	v_fmac_f32_e32 v8, 0xbf167918, v3
	v_fmac_f32_e32 v4, 0x3f167918, v3
	v_fmamk_f32 v3, v11, 0x3f737871, v1
	v_fmac_f32_e32 v1, 0xbf737871, v11
	v_add_f32_e32 v5, v10, v35
	v_sub_f32_e32 v10, v34, v36
	v_sub_f32_e32 v14, v21, v35
	s_delay_alu instid0(VALU_DEP_2) | instskip(NEXT) | instid1(VALU_DEP_1)
	v_dual_sub_f32 v16, v12, v37 :: v_dual_fmac_f32 v3, 0x3f167918, v10
	v_add_f32_e32 v14, v14, v16
	v_fmac_f32_e32 v0, 0x3e9e377a, v9
	v_add_f32_e32 v9, v5, v37
	v_dual_add_f32 v5, v21, v12 :: v_dual_fmac_f32 v8, 0x3e9e377a, v7
	s_delay_alu instid0(VALU_DEP_2) | instskip(NEXT) | instid1(VALU_DEP_2)
	v_dual_fmac_f32 v4, 0x3e9e377a, v7 :: v_dual_add_f32 v7, v9, v12
	v_fma_f32 v5, -0.5, v5, v17
	v_sub_f32_e32 v12, v37, v12
	v_add_f32_e32 v17, v41, v30
	s_delay_alu instid0(VALU_DEP_3) | instskip(NEXT) | instid1(VALU_DEP_1)
	v_fmamk_f32 v9, v10, 0xbf737871, v5
	v_fmac_f32_e32 v9, 0x3f167918, v11
	v_dual_fmac_f32 v5, 0x3f737871, v10 :: v_dual_sub_f32 v16, v35, v21
	v_fmac_f32_e32 v1, 0xbf167918, v10
	v_fma_f32 v10, -0.5, v17, v18
	v_sub_f32_e32 v17, v28, v15
	s_delay_alu instid0(VALU_DEP_4) | instskip(SKIP_3) | instid1(VALU_DEP_4)
	v_dual_fmac_f32 v5, 0xbf167918, v11 :: v_dual_add_f32 v16, v16, v12
	v_dual_sub_f32 v21, v13, v30 :: v_dual_add_f32 v12, v18, v40
	v_fmac_f32_e32 v3, 0x3e9e377a, v14
	v_fmac_f32_e32 v1, 0x3e9e377a, v14
	v_dual_fmac_f32 v9, 0x3e9e377a, v16 :: v_dual_sub_f32 v14, v40, v41
	s_delay_alu instid0(VALU_DEP_4) | instskip(SKIP_2) | instid1(VALU_DEP_4)
	v_dual_add_f32 v11, v12, v41 :: v_dual_fmamk_f32 v12, v17, 0xbf737871, v10
	v_sub_f32_e32 v20, v29, v24
	v_fmac_f32_e32 v10, 0x3f737871, v17
	v_add_f32_e32 v21, v14, v21
	s_delay_alu instid0(VALU_DEP_4) | instskip(SKIP_2) | instid1(VALU_DEP_3)
	v_add_f32_e32 v11, v11, v30
	v_fma_f32 v18, -0.5, v25, v18
	v_dual_fmac_f32 v12, 0xbf167918, v20 :: v_dual_sub_f32 v25, v30, v13
	v_dual_fmac_f32 v5, 0x3e9e377a, v16 :: v_dual_add_f32 v14, v11, v13
	v_add_f32_e32 v11, v29, v24
	v_fmac_f32_e32 v10, 0x3f167918, v20
	s_delay_alu instid0(VALU_DEP_4) | instskip(NEXT) | instid1(VALU_DEP_3)
	v_fmac_f32_e32 v12, 0x3e9e377a, v21
	v_fma_f32 v11, -0.5, v11, v19
	s_delay_alu instid0(VALU_DEP_3) | instskip(SKIP_2) | instid1(VALU_DEP_4)
	v_dual_fmac_f32 v10, 0x3e9e377a, v21 :: v_dual_sub_f32 v21, v41, v40
	v_fmamk_f32 v16, v20, 0x3f737871, v18
	v_fmac_f32_e32 v18, 0xbf737871, v20
	v_fmamk_f32 v13, v26, 0x3f737871, v11
	s_delay_alu instid0(VALU_DEP_4) | instskip(SKIP_3) | instid1(VALU_DEP_3)
	v_add_f32_e32 v21, v21, v25
	v_dual_sub_f32 v25, v41, v30 :: v_dual_add_f32 v20, v19, v28
	v_fmac_f32_e32 v16, 0xbf167918, v17
	v_fmac_f32_e32 v18, 0x3f167918, v17
	;; [unrolled: 1-line block ×3, first 2 shown]
	s_delay_alu instid0(VALU_DEP_4) | instskip(SKIP_1) | instid1(VALU_DEP_1)
	v_add_f32_e32 v17, v20, v29
	v_add_f32_e32 v20, v28, v15
	v_dual_fmac_f32 v19, -0.5, v20 :: v_dual_sub_f32 v20, v28, v29
	v_fmac_f32_e32 v16, 0x3e9e377a, v21
	v_sub_f32_e32 v28, v29, v28
	s_delay_alu instid0(VALU_DEP_3) | instskip(SKIP_4) | instid1(VALU_DEP_4)
	v_add_f32_e32 v20, v20, v27
	v_dual_fmac_f32 v18, 0x3e9e377a, v21 :: v_dual_add_f32 v21, v17, v24
	v_fmac_f32_e32 v11, 0xbf737871, v26
	v_dual_fmamk_f32 v17, v25, 0xbf737871, v19 :: v_dual_sub_f32 v24, v24, v15
	v_fmac_f32_e32 v19, 0x3f737871, v25
	v_add_f32_e32 v15, v21, v15
	s_delay_alu instid0(VALU_DEP_4) | instskip(NEXT) | instid1(VALU_DEP_4)
	v_fmac_f32_e32 v11, 0xbf167918, v25
	v_dual_fmac_f32 v17, 0x3f167918, v26 :: v_dual_add_f32 v24, v28, v24
	s_delay_alu instid0(VALU_DEP_4) | instskip(SKIP_1) | instid1(VALU_DEP_4)
	v_fmac_f32_e32 v19, 0xbf167918, v26
	v_fmac_f32_e32 v13, 0x3e9e377a, v20
	;; [unrolled: 1-line block ×3, first 2 shown]
	s_delay_alu instid0(VALU_DEP_4) | instskip(NEXT) | instid1(VALU_DEP_4)
	v_fmac_f32_e32 v17, 0x3e9e377a, v24
	v_fmac_f32_e32 v19, 0x3e9e377a, v24
	ds_store_2addr_b64 v85, v[6:7], v[2:3] offset1:154
	ds_store_2addr_b64 v22, v[8:9], v[4:5] offset0:52 offset1:206
	ds_store_2addr_b64 v23, v[0:1], v[14:15] offset0:40 offset1:194
	;; [unrolled: 1-line block ×4, first 2 shown]
	global_wb scope:SCOPE_SE
	s_wait_dscnt 0x0
	s_barrier_signal -1
	s_barrier_wait -1
	global_inv scope:SCOPE_SE
	ds_load_2addr_b64 v[0:3], v23 offset0:40 offset1:194
	ds_load_2addr_b64 v[4:7], v32 offset0:28 offset1:182
	;; [unrolled: 1-line block ×3, first 2 shown]
	ds_load_2addr_b64 v[12:15], v85 offset1:154
	ds_load_2addr_b64 v[16:19], v22 offset0:52 offset1:206
	s_wait_dscnt 0x4
	v_mul_f32_e32 v20, v76, v3
	s_wait_dscnt 0x3
	v_mul_f32_e32 v24, v80, v5
	v_mul_f32_e32 v21, v76, v2
	v_mul_f32_e32 v26, v72, v7
	v_fmac_f32_e32 v20, v75, v2
	s_delay_alu instid0(VALU_DEP_4) | instskip(NEXT) | instid1(VALU_DEP_4)
	v_fmac_f32_e32 v24, v79, v4
	v_fma_f32 v3, v75, v3, -v21
	s_wait_dscnt 0x2
	v_mul_f32_e32 v21, v74, v9
	v_dual_mul_f32 v25, v80, v4 :: v_dual_fmac_f32 v26, v71, v6
	v_mul_f32_e32 v2, v72, v6
	s_delay_alu instid0(VALU_DEP_3) | instskip(NEXT) | instid1(VALU_DEP_3)
	v_dual_mul_f32 v6, v78, v10 :: v_dual_fmac_f32 v21, v73, v8
	v_fma_f32 v5, v79, v5, -v25
	v_mul_f32_e32 v25, v78, v11
	v_mul_f32_e32 v4, v74, v8
	v_fma_f32 v27, v71, v7, -v2
	v_fma_f32 v29, v77, v11, -v6
	s_wait_dscnt 0x1
	v_sub_f32_e32 v5, v15, v5
	v_fmac_f32_e32 v25, v77, v10
	v_fma_f32 v28, v73, v9, -v4
	v_sub_f32_e32 v4, v14, v24
	v_dual_sub_f32 v2, v12, v20 :: v_dual_sub_f32 v3, v13, v3
	s_wait_dscnt 0x0
	v_dual_sub_f32 v8, v16, v26 :: v_dual_sub_f32 v9, v17, v27
	s_delay_alu instid0(VALU_DEP_3)
	v_fma_f32 v10, v14, 2.0, -v4
	v_fma_f32 v11, v15, 2.0, -v5
	v_dual_sub_f32 v14, v18, v21 :: v_dual_sub_f32 v15, v19, v28
	v_sub_f32_e32 v20, v0, v25
	v_sub_f32_e32 v21, v1, v29
	v_fma_f32 v6, v12, 2.0, -v2
	v_fma_f32 v7, v13, 2.0, -v3
	;; [unrolled: 1-line block ×8, first 2 shown]
	ds_store_2addr_b64 v85, v[6:7], v[10:11] offset1:154
	ds_store_2addr_b64 v32, v[4:5], v[8:9] offset0:28 offset1:182
	ds_store_2addr_b64 v22, v[12:13], v[16:17] offset0:52 offset1:206
	;; [unrolled: 1-line block ×4, first 2 shown]
	global_wb scope:SCOPE_SE
	s_wait_dscnt 0x0
	s_barrier_signal -1
	s_barrier_wait -1
	global_inv scope:SCOPE_SE
	s_and_b32 exec_lo, exec_lo, vcc_lo
	s_cbranch_execz .LBB0_23
; %bb.22:
	s_clause 0xa
	global_load_b64 v[20:21], v84, s[12:13]
	global_load_b64 v[22:23], v84, s[12:13] offset:1120
	global_load_b64 v[24:25], v84, s[12:13] offset:2240
	;; [unrolled: 1-line block ×10, first 2 shown]
	v_mad_co_u64_u32 v[42:43], null, s6, v60, 0
	ds_load_b64 v[44:45], v85
	v_mad_co_u64_u32 v[46:47], null, s4, v83, 0
	v_add_nc_u32_e32 v0, 0x400, v84
	v_add_nc_u32_e32 v8, 0x1400, v84
	v_dual_mov_b32 v12, v43 :: v_dual_add_nc_u32 v13, 0x1c00, v84
	v_add_nc_u32_e32 v16, 0x2400, v84
	s_mov_b32 s0, 0xe6bb82fe
	v_mov_b32_e32 v43, v47
	ds_load_2addr_b64 v[0:3], v0 offset0:12 offset1:152
	v_mad_co_u64_u32 v[48:49], null, s7, v60, v[12:13]
	v_add_nc_u32_e32 v4, 0xc00, v84
	s_mov_b32 s1, 0x3f454725
	s_mul_u64 s[2:3], s[4:5], 0x460
	s_wait_dscnt 0x1
	v_mad_co_u64_u32 v[49:50], null, s5, v83, v[43:44]
	s_delay_alu instid0(VALU_DEP_3) | instskip(SKIP_2) | instid1(VALU_DEP_1)
	v_mov_b32_e32 v43, v48
	ds_load_2addr_b64 v[4:7], v4 offset0:36 offset1:176
	v_lshlrev_b64_e32 v[42:43], 3, v[42:43]
	v_add_co_u32 v42, vcc_lo, s8, v42
	s_delay_alu instid0(VALU_DEP_2)
	v_add_co_ci_u32_e32 v43, vcc_lo, s9, v43, vcc_lo
	s_wait_loadcnt 0xa
	v_mul_f32_e32 v47, v45, v21
	ds_load_2addr_b64 v[8:11], v8 offset0:60 offset1:200
	v_mul_f32_e32 v21, v44, v21
	ds_load_2addr_b64 v[12:15], v13 offset0:84 offset1:224
	ds_load_2addr_b64 v[16:19], v16 offset0:108 offset1:248
	s_wait_loadcnt_dscnt 0x904
	v_mul_f32_e32 v48, v1, v23
	s_wait_loadcnt 0x8
	v_dual_mul_f32 v23, v0, v23 :: v_dual_mul_f32 v50, v3, v25
	v_mul_f32_e32 v25, v2, v25
	s_wait_loadcnt_dscnt 0x603
	v_dual_mul_f32 v51, v5, v27 :: v_dual_mul_f32 v52, v7, v29
	v_mul_f32_e32 v27, v4, v27
	v_dual_mul_f32 v29, v6, v29 :: v_dual_fmac_f32 v48, v0, v22
	v_fmac_f32_e32 v47, v44, v20
	v_fma_f32 v20, v20, v45, -v21
	v_fma_f32 v21, v22, v1, -v23
	v_fma_f32 v22, v24, v3, -v25
	v_fmac_f32_e32 v50, v2, v24
	v_fmac_f32_e32 v52, v6, v28
	v_fma_f32 v24, v28, v7, -v29
	v_cvt_f64_f32_e32 v[0:1], v47
	s_wait_loadcnt_dscnt 0x201
	v_dual_mul_f32 v53, v9, v31 :: v_dual_mul_f32 v56, v15, v37
	s_wait_loadcnt_dscnt 0x0
	v_dual_mul_f32 v31, v8, v31 :: v_dual_mul_f32 v58, v19, v41
	v_mul_f32_e32 v54, v11, v33
	v_mul_f32_e32 v33, v10, v33
	;; [unrolled: 1-line block ×5, first 2 shown]
	v_dual_fmac_f32 v51, v4, v26 :: v_dual_fmac_f32 v58, v18, v40
	v_fma_f32 v23, v26, v5, -v27
	v_dual_mul_f32 v57, v17, v39 :: v_dual_fmac_f32 v54, v10, v32
	v_dual_mul_f32 v39, v16, v39 :: v_dual_fmac_f32 v56, v14, v36
	v_mul_f32_e32 v41, v18, v41
	v_fmac_f32_e32 v53, v8, v30
	v_fma_f32 v25, v30, v9, -v31
	v_cvt_f64_f32_e32 v[2:3], v20
	v_fma_f32 v26, v32, v11, -v33
	v_cvt_f64_f32_e32 v[4:5], v48
	v_cvt_f64_f32_e32 v[6:7], v21
	v_fmac_f32_e32 v55, v12, v34
	v_fma_f32 v30, v34, v13, -v35
	v_cvt_f64_f32_e32 v[8:9], v50
	v_cvt_f64_f32_e32 v[10:11], v22
	v_fma_f32 v34, v36, v15, -v37
	v_cvt_f64_f32_e32 v[12:13], v51
	v_cvt_f64_f32_e32 v[14:15], v23
	v_fmac_f32_e32 v57, v16, v38
	v_fma_f32 v38, v38, v17, -v39
	v_fma_f32 v44, v40, v19, -v41
	v_cvt_f64_f32_e32 v[16:17], v52
	v_cvt_f64_f32_e32 v[18:19], v24
	;; [unrolled: 1-line block ×14, first 2 shown]
	s_wait_alu 0xfffe
	v_mul_f64_e32 v[0:1], s[0:1], v[0:1]
	v_mov_b32_e32 v47, v49
	s_delay_alu instid0(VALU_DEP_1) | instskip(SKIP_3) | instid1(VALU_DEP_4)
	v_lshlrev_b64_e32 v[46:47], 3, v[46:47]
	v_mul_f64_e32 v[2:3], s[0:1], v[2:3]
	v_mul_f64_e32 v[4:5], s[0:1], v[4:5]
	;; [unrolled: 1-line block ×3, first 2 shown]
	v_add_co_u32 v42, vcc_lo, v42, v46
	v_mul_f64_e32 v[8:9], s[0:1], v[8:9]
	v_mul_f64_e32 v[10:11], s[0:1], v[10:11]
	s_wait_alu 0xfffd
	v_add_co_ci_u32_e32 v43, vcc_lo, v43, v47, vcc_lo
	v_mul_f64_e32 v[12:13], s[0:1], v[12:13]
	v_mul_f64_e32 v[14:15], s[0:1], v[14:15]
	v_add_co_u32 v46, vcc_lo, v42, s2
	v_mul_f64_e32 v[16:17], s[0:1], v[16:17]
	v_mul_f64_e32 v[18:19], s[0:1], v[18:19]
	;; [unrolled: 1-line block ×14, first 2 shown]
	s_wait_alu 0xfffd
	v_add_co_ci_u32_e32 v47, vcc_lo, s3, v43, vcc_lo
	v_add_co_u32 v48, vcc_lo, v46, s2
	v_cvt_f32_f64_e32 v0, v[0:1]
	s_wait_alu 0xfffd
	s_delay_alu instid0(VALU_DEP_3) | instskip(NEXT) | instid1(VALU_DEP_3)
	v_add_co_ci_u32_e32 v49, vcc_lo, s3, v47, vcc_lo
	v_add_co_u32 v50, vcc_lo, v48, s2
	v_cvt_f32_f64_e32 v1, v[2:3]
	s_wait_alu 0xfffd
	s_delay_alu instid0(VALU_DEP_3)
	v_add_co_ci_u32_e32 v51, vcc_lo, s3, v49, vcc_lo
	v_cvt_f32_f64_e32 v2, v[4:5]
	v_cvt_f32_f64_e32 v3, v[6:7]
	v_add_co_u32 v52, vcc_lo, v50, s2
	v_cvt_f32_f64_e32 v4, v[8:9]
	v_cvt_f32_f64_e32 v5, v[10:11]
	s_wait_alu 0xfffd
	v_add_co_ci_u32_e32 v53, vcc_lo, s3, v51, vcc_lo
	v_cvt_f32_f64_e32 v6, v[12:13]
	v_cvt_f32_f64_e32 v7, v[14:15]
	;; [unrolled: 1-line block ×16, first 2 shown]
	v_add_co_u32 v22, vcc_lo, v52, s2
	s_wait_alu 0xfffd
	v_add_co_ci_u32_e32 v23, vcc_lo, s3, v53, vcc_lo
	s_delay_alu instid0(VALU_DEP_2) | instskip(SKIP_1) | instid1(VALU_DEP_2)
	v_add_co_u32 v24, vcc_lo, v22, s2
	s_wait_alu 0xfffd
	v_add_co_ci_u32_e32 v25, vcc_lo, s3, v23, vcc_lo
	s_delay_alu instid0(VALU_DEP_2) | instskip(SKIP_1) | instid1(VALU_DEP_2)
	;; [unrolled: 4-line block ×5, first 2 shown]
	v_add_co_u32 v32, vcc_lo, v30, s2
	s_wait_alu 0xfffd
	v_add_co_ci_u32_e32 v33, vcc_lo, s3, v31, vcc_lo
	s_clause 0x4
	global_store_b64 v[42:43], v[0:1], off
	global_store_b64 v[46:47], v[2:3], off
	global_store_b64 v[48:49], v[4:5], off
	global_store_b64 v[50:51], v[6:7], off
	global_store_b64 v[52:53], v[8:9], off
	global_store_b64 v[22:23], v[10:11], off
	global_store_b64 v[24:25], v[12:13], off
	global_store_b64 v[26:27], v[14:15], off
	global_store_b64 v[28:29], v[16:17], off
	global_store_b64 v[30:31], v[18:19], off
	global_store_b64 v[32:33], v[20:21], off
.LBB0_23:
	s_nop 0
	s_sendmsg sendmsg(MSG_DEALLOC_VGPRS)
	s_endpgm
	.section	.rodata,"a",@progbits
	.p2align	6, 0x0
	.amdhsa_kernel bluestein_single_back_len1540_dim1_sp_op_CI_CI
		.amdhsa_group_segment_fixed_size 12320
		.amdhsa_private_segment_fixed_size 0
		.amdhsa_kernarg_size 104
		.amdhsa_user_sgpr_count 2
		.amdhsa_user_sgpr_dispatch_ptr 0
		.amdhsa_user_sgpr_queue_ptr 0
		.amdhsa_user_sgpr_kernarg_segment_ptr 1
		.amdhsa_user_sgpr_dispatch_id 0
		.amdhsa_user_sgpr_private_segment_size 0
		.amdhsa_wavefront_size32 1
		.amdhsa_uses_dynamic_stack 0
		.amdhsa_enable_private_segment 0
		.amdhsa_system_sgpr_workgroup_id_x 1
		.amdhsa_system_sgpr_workgroup_id_y 0
		.amdhsa_system_sgpr_workgroup_id_z 0
		.amdhsa_system_sgpr_workgroup_info 0
		.amdhsa_system_vgpr_workitem_id 0
		.amdhsa_next_free_vgpr 176
		.amdhsa_next_free_sgpr 14
		.amdhsa_reserve_vcc 1
		.amdhsa_float_round_mode_32 0
		.amdhsa_float_round_mode_16_64 0
		.amdhsa_float_denorm_mode_32 3
		.amdhsa_float_denorm_mode_16_64 3
		.amdhsa_fp16_overflow 0
		.amdhsa_workgroup_processor_mode 1
		.amdhsa_memory_ordered 1
		.amdhsa_forward_progress 0
		.amdhsa_round_robin_scheduling 0
		.amdhsa_exception_fp_ieee_invalid_op 0
		.amdhsa_exception_fp_denorm_src 0
		.amdhsa_exception_fp_ieee_div_zero 0
		.amdhsa_exception_fp_ieee_overflow 0
		.amdhsa_exception_fp_ieee_underflow 0
		.amdhsa_exception_fp_ieee_inexact 0
		.amdhsa_exception_int_div_zero 0
	.end_amdhsa_kernel
	.text
.Lfunc_end0:
	.size	bluestein_single_back_len1540_dim1_sp_op_CI_CI, .Lfunc_end0-bluestein_single_back_len1540_dim1_sp_op_CI_CI
                                        ; -- End function
	.section	.AMDGPU.csdata,"",@progbits
; Kernel info:
; codeLenInByte = 15312
; NumSgprs: 16
; NumVgprs: 176
; ScratchSize: 0
; MemoryBound: 0
; FloatMode: 240
; IeeeMode: 1
; LDSByteSize: 12320 bytes/workgroup (compile time only)
; SGPRBlocks: 1
; VGPRBlocks: 21
; NumSGPRsForWavesPerEU: 16
; NumVGPRsForWavesPerEU: 176
; Occupancy: 8
; WaveLimiterHint : 1
; COMPUTE_PGM_RSRC2:SCRATCH_EN: 0
; COMPUTE_PGM_RSRC2:USER_SGPR: 2
; COMPUTE_PGM_RSRC2:TRAP_HANDLER: 0
; COMPUTE_PGM_RSRC2:TGID_X_EN: 1
; COMPUTE_PGM_RSRC2:TGID_Y_EN: 0
; COMPUTE_PGM_RSRC2:TGID_Z_EN: 0
; COMPUTE_PGM_RSRC2:TIDIG_COMP_CNT: 0
	.text
	.p2alignl 7, 3214868480
	.fill 96, 4, 3214868480
	.type	__hip_cuid_6642cfb2b6a8f56f,@object ; @__hip_cuid_6642cfb2b6a8f56f
	.section	.bss,"aw",@nobits
	.globl	__hip_cuid_6642cfb2b6a8f56f
__hip_cuid_6642cfb2b6a8f56f:
	.byte	0                               ; 0x0
	.size	__hip_cuid_6642cfb2b6a8f56f, 1

	.ident	"AMD clang version 19.0.0git (https://github.com/RadeonOpenCompute/llvm-project roc-6.4.0 25133 c7fe45cf4b819c5991fe208aaa96edf142730f1d)"
	.section	".note.GNU-stack","",@progbits
	.addrsig
	.addrsig_sym __hip_cuid_6642cfb2b6a8f56f
	.amdgpu_metadata
---
amdhsa.kernels:
  - .args:
      - .actual_access:  read_only
        .address_space:  global
        .offset:         0
        .size:           8
        .value_kind:     global_buffer
      - .actual_access:  read_only
        .address_space:  global
        .offset:         8
        .size:           8
        .value_kind:     global_buffer
      - .actual_access:  read_only
        .address_space:  global
        .offset:         16
        .size:           8
        .value_kind:     global_buffer
      - .actual_access:  read_only
        .address_space:  global
        .offset:         24
        .size:           8
        .value_kind:     global_buffer
      - .actual_access:  read_only
        .address_space:  global
        .offset:         32
        .size:           8
        .value_kind:     global_buffer
      - .offset:         40
        .size:           8
        .value_kind:     by_value
      - .address_space:  global
        .offset:         48
        .size:           8
        .value_kind:     global_buffer
      - .address_space:  global
        .offset:         56
        .size:           8
        .value_kind:     global_buffer
      - .address_space:  global
        .offset:         64
        .size:           8
        .value_kind:     global_buffer
      - .address_space:  global
        .offset:         72
        .size:           8
        .value_kind:     global_buffer
      - .offset:         80
        .size:           4
        .value_kind:     by_value
      - .address_space:  global
        .offset:         88
        .size:           8
        .value_kind:     global_buffer
      - .address_space:  global
        .offset:         96
        .size:           8
        .value_kind:     global_buffer
    .group_segment_fixed_size: 12320
    .kernarg_segment_align: 8
    .kernarg_segment_size: 104
    .language:       OpenCL C
    .language_version:
      - 2
      - 0
    .max_flat_workgroup_size: 154
    .name:           bluestein_single_back_len1540_dim1_sp_op_CI_CI
    .private_segment_fixed_size: 0
    .sgpr_count:     16
    .sgpr_spill_count: 0
    .symbol:         bluestein_single_back_len1540_dim1_sp_op_CI_CI.kd
    .uniform_work_group_size: 1
    .uses_dynamic_stack: false
    .vgpr_count:     176
    .vgpr_spill_count: 0
    .wavefront_size: 32
    .workgroup_processor_mode: 1
amdhsa.target:   amdgcn-amd-amdhsa--gfx1201
amdhsa.version:
  - 1
  - 2
...

	.end_amdgpu_metadata
